;; amdgpu-corpus repo=ROCm/rocFFT kind=compiled arch=gfx1030 opt=O3
	.text
	.amdgcn_target "amdgcn-amd-amdhsa--gfx1030"
	.amdhsa_code_object_version 6
	.protected	fft_rtc_fwd_len2560_factors_4_4_4_10_4_wgs_128_tpt_128_halfLds_half_op_CI_CI_sbrr_dirReg ; -- Begin function fft_rtc_fwd_len2560_factors_4_4_4_10_4_wgs_128_tpt_128_halfLds_half_op_CI_CI_sbrr_dirReg
	.globl	fft_rtc_fwd_len2560_factors_4_4_4_10_4_wgs_128_tpt_128_halfLds_half_op_CI_CI_sbrr_dirReg
	.p2align	8
	.type	fft_rtc_fwd_len2560_factors_4_4_4_10_4_wgs_128_tpt_128_halfLds_half_op_CI_CI_sbrr_dirReg,@function
fft_rtc_fwd_len2560_factors_4_4_4_10_4_wgs_128_tpt_128_halfLds_half_op_CI_CI_sbrr_dirReg: ; @fft_rtc_fwd_len2560_factors_4_4_4_10_4_wgs_128_tpt_128_halfLds_half_op_CI_CI_sbrr_dirReg
; %bb.0:
	s_clause 0x2
	s_load_dwordx4 s[16:19], s[4:5], 0x18
	s_load_dwordx4 s[12:15], s[4:5], 0x0
	;; [unrolled: 1-line block ×3, first 2 shown]
	v_mov_b32_e32 v3, 0
	v_mov_b32_e32 v1, 0
	v_mov_b32_e32 v5, s6
	v_mov_b32_e32 v2, 0
	s_waitcnt lgkmcnt(0)
	s_load_dwordx2 s[20:21], s[16:17], 0x0
	s_load_dwordx2 s[2:3], s[18:19], 0x0
	v_cmp_lt_u64_e64 s0, s[14:15], 2
	v_mov_b32_e32 v6, v3
	s_and_b32 vcc_lo, exec_lo, s0
	s_cbranch_vccnz .LBB0_8
; %bb.1:
	s_load_dwordx2 s[0:1], s[4:5], 0x10
	v_mov_b32_e32 v1, 0
	v_mov_b32_e32 v2, 0
	s_add_u32 s6, s18, 8
	s_addc_u32 s7, s19, 0
	s_add_u32 s22, s16, 8
	s_addc_u32 s23, s17, 0
	v_mov_b32_e32 v10, v2
	v_mov_b32_e32 v9, v1
	s_mov_b64 s[26:27], 1
	s_waitcnt lgkmcnt(0)
	s_add_u32 s24, s0, 8
	s_addc_u32 s25, s1, 0
.LBB0_2:                                ; =>This Inner Loop Header: Depth=1
	s_load_dwordx2 s[28:29], s[24:25], 0x0
                                        ; implicit-def: $vgpr11_vgpr12
	s_mov_b32 s0, exec_lo
	s_waitcnt lgkmcnt(0)
	v_or_b32_e32 v4, s29, v6
	v_cmpx_ne_u64_e32 0, v[3:4]
	s_xor_b32 s1, exec_lo, s0
	s_cbranch_execz .LBB0_4
; %bb.3:                                ;   in Loop: Header=BB0_2 Depth=1
	v_cvt_f32_u32_e32 v4, s28
	v_cvt_f32_u32_e32 v7, s29
	s_sub_u32 s0, 0, s28
	s_subb_u32 s30, 0, s29
	v_fmac_f32_e32 v4, 0x4f800000, v7
	v_rcp_f32_e32 v4, v4
	v_mul_f32_e32 v4, 0x5f7ffffc, v4
	v_mul_f32_e32 v7, 0x2f800000, v4
	v_trunc_f32_e32 v7, v7
	v_fmac_f32_e32 v4, 0xcf800000, v7
	v_cvt_u32_f32_e32 v7, v7
	v_cvt_u32_f32_e32 v4, v4
	v_mul_lo_u32 v8, s0, v7
	v_mul_hi_u32 v11, s0, v4
	v_mul_lo_u32 v12, s30, v4
	v_add_nc_u32_e32 v8, v11, v8
	v_mul_lo_u32 v11, s0, v4
	v_add_nc_u32_e32 v8, v8, v12
	v_mul_hi_u32 v12, v4, v11
	v_mul_lo_u32 v13, v4, v8
	v_mul_hi_u32 v14, v4, v8
	v_mul_hi_u32 v15, v7, v11
	v_mul_lo_u32 v11, v7, v11
	v_mul_hi_u32 v16, v7, v8
	v_mul_lo_u32 v8, v7, v8
	v_add_co_u32 v12, vcc_lo, v12, v13
	v_add_co_ci_u32_e32 v13, vcc_lo, 0, v14, vcc_lo
	v_add_co_u32 v11, vcc_lo, v12, v11
	v_add_co_ci_u32_e32 v11, vcc_lo, v13, v15, vcc_lo
	v_add_co_ci_u32_e32 v12, vcc_lo, 0, v16, vcc_lo
	v_add_co_u32 v8, vcc_lo, v11, v8
	v_add_co_ci_u32_e32 v11, vcc_lo, 0, v12, vcc_lo
	v_add_co_u32 v4, vcc_lo, v4, v8
	v_add_co_ci_u32_e32 v7, vcc_lo, v7, v11, vcc_lo
	v_mul_hi_u32 v8, s0, v4
	v_mul_lo_u32 v12, s30, v4
	v_mul_lo_u32 v11, s0, v7
	v_add_nc_u32_e32 v8, v8, v11
	v_mul_lo_u32 v11, s0, v4
	v_add_nc_u32_e32 v8, v8, v12
	v_mul_hi_u32 v12, v4, v11
	v_mul_lo_u32 v13, v4, v8
	v_mul_hi_u32 v14, v4, v8
	v_mul_hi_u32 v15, v7, v11
	v_mul_lo_u32 v11, v7, v11
	v_mul_hi_u32 v16, v7, v8
	v_mul_lo_u32 v8, v7, v8
	v_add_co_u32 v12, vcc_lo, v12, v13
	v_add_co_ci_u32_e32 v13, vcc_lo, 0, v14, vcc_lo
	v_add_co_u32 v11, vcc_lo, v12, v11
	v_add_co_ci_u32_e32 v11, vcc_lo, v13, v15, vcc_lo
	v_add_co_ci_u32_e32 v12, vcc_lo, 0, v16, vcc_lo
	v_add_co_u32 v8, vcc_lo, v11, v8
	v_add_co_ci_u32_e32 v11, vcc_lo, 0, v12, vcc_lo
	v_add_co_u32 v4, vcc_lo, v4, v8
	v_add_co_ci_u32_e32 v13, vcc_lo, v7, v11, vcc_lo
	v_mul_hi_u32 v15, v5, v4
	v_mad_u64_u32 v[11:12], null, v6, v4, 0
	v_mad_u64_u32 v[7:8], null, v5, v13, 0
	v_mad_u64_u32 v[13:14], null, v6, v13, 0
	v_add_co_u32 v4, vcc_lo, v15, v7
	v_add_co_ci_u32_e32 v7, vcc_lo, 0, v8, vcc_lo
	v_add_co_u32 v4, vcc_lo, v4, v11
	v_add_co_ci_u32_e32 v4, vcc_lo, v7, v12, vcc_lo
	v_add_co_ci_u32_e32 v7, vcc_lo, 0, v14, vcc_lo
	v_add_co_u32 v4, vcc_lo, v4, v13
	v_add_co_ci_u32_e32 v11, vcc_lo, 0, v7, vcc_lo
	v_mul_lo_u32 v12, s29, v4
	v_mad_u64_u32 v[7:8], null, s28, v4, 0
	v_mul_lo_u32 v13, s28, v11
	v_sub_co_u32 v7, vcc_lo, v5, v7
	v_add3_u32 v8, v8, v13, v12
	v_sub_nc_u32_e32 v12, v6, v8
	v_subrev_co_ci_u32_e64 v12, s0, s29, v12, vcc_lo
	v_add_co_u32 v13, s0, v4, 2
	v_add_co_ci_u32_e64 v14, s0, 0, v11, s0
	v_sub_co_u32 v15, s0, v7, s28
	v_sub_co_ci_u32_e32 v8, vcc_lo, v6, v8, vcc_lo
	v_subrev_co_ci_u32_e64 v12, s0, 0, v12, s0
	v_cmp_le_u32_e32 vcc_lo, s28, v15
	v_cmp_eq_u32_e64 s0, s29, v8
	v_cndmask_b32_e64 v15, 0, -1, vcc_lo
	v_cmp_le_u32_e32 vcc_lo, s29, v12
	v_cndmask_b32_e64 v16, 0, -1, vcc_lo
	v_cmp_le_u32_e32 vcc_lo, s28, v7
	;; [unrolled: 2-line block ×3, first 2 shown]
	v_cndmask_b32_e64 v17, 0, -1, vcc_lo
	v_cmp_eq_u32_e32 vcc_lo, s29, v12
	v_cndmask_b32_e64 v7, v17, v7, s0
	v_cndmask_b32_e32 v12, v16, v15, vcc_lo
	v_add_co_u32 v15, vcc_lo, v4, 1
	v_add_co_ci_u32_e32 v16, vcc_lo, 0, v11, vcc_lo
	v_cmp_ne_u32_e32 vcc_lo, 0, v12
	v_cndmask_b32_e32 v8, v16, v14, vcc_lo
	v_cndmask_b32_e32 v13, v15, v13, vcc_lo
	v_cmp_ne_u32_e32 vcc_lo, 0, v7
	v_cndmask_b32_e32 v12, v11, v8, vcc_lo
	v_cndmask_b32_e32 v11, v4, v13, vcc_lo
.LBB0_4:                                ;   in Loop: Header=BB0_2 Depth=1
	s_andn2_saveexec_b32 s0, s1
	s_cbranch_execz .LBB0_6
; %bb.5:                                ;   in Loop: Header=BB0_2 Depth=1
	v_cvt_f32_u32_e32 v4, s28
	s_sub_i32 s1, 0, s28
	v_mov_b32_e32 v12, v3
	v_rcp_iflag_f32_e32 v4, v4
	v_mul_f32_e32 v4, 0x4f7ffffe, v4
	v_cvt_u32_f32_e32 v4, v4
	v_mul_lo_u32 v7, s1, v4
	v_mul_hi_u32 v7, v4, v7
	v_add_nc_u32_e32 v4, v4, v7
	v_mul_hi_u32 v4, v5, v4
	v_mul_lo_u32 v7, v4, s28
	v_add_nc_u32_e32 v8, 1, v4
	v_sub_nc_u32_e32 v7, v5, v7
	v_subrev_nc_u32_e32 v11, s28, v7
	v_cmp_le_u32_e32 vcc_lo, s28, v7
	v_cndmask_b32_e32 v7, v7, v11, vcc_lo
	v_cndmask_b32_e32 v4, v4, v8, vcc_lo
	v_cmp_le_u32_e32 vcc_lo, s28, v7
	v_add_nc_u32_e32 v8, 1, v4
	v_cndmask_b32_e32 v11, v4, v8, vcc_lo
.LBB0_6:                                ;   in Loop: Header=BB0_2 Depth=1
	s_or_b32 exec_lo, exec_lo, s0
	v_mul_lo_u32 v4, v12, s28
	v_mul_lo_u32 v13, v11, s29
	s_load_dwordx2 s[0:1], s[22:23], 0x0
	v_mad_u64_u32 v[7:8], null, v11, s28, 0
	s_load_dwordx2 s[28:29], s[6:7], 0x0
	s_add_u32 s26, s26, 1
	s_addc_u32 s27, s27, 0
	s_add_u32 s6, s6, 8
	s_addc_u32 s7, s7, 0
	s_add_u32 s22, s22, 8
	v_add3_u32 v4, v8, v13, v4
	v_sub_co_u32 v5, vcc_lo, v5, v7
	s_addc_u32 s23, s23, 0
	s_add_u32 s24, s24, 8
	v_sub_co_ci_u32_e32 v4, vcc_lo, v6, v4, vcc_lo
	s_addc_u32 s25, s25, 0
	s_waitcnt lgkmcnt(0)
	v_mul_lo_u32 v6, s0, v4
	v_mul_lo_u32 v7, s1, v5
	v_mad_u64_u32 v[1:2], null, s0, v5, v[1:2]
	v_mul_lo_u32 v4, s28, v4
	v_mul_lo_u32 v8, s29, v5
	v_mad_u64_u32 v[9:10], null, s28, v5, v[9:10]
	v_cmp_ge_u64_e64 s0, s[26:27], s[14:15]
	v_add3_u32 v2, v7, v2, v6
	v_add3_u32 v10, v8, v10, v4
	s_and_b32 vcc_lo, exec_lo, s0
	s_cbranch_vccnz .LBB0_9
; %bb.7:                                ;   in Loop: Header=BB0_2 Depth=1
	v_mov_b32_e32 v5, v11
	v_mov_b32_e32 v6, v12
	s_branch .LBB0_2
.LBB0_8:
	v_mov_b32_e32 v10, v2
	v_mov_b32_e32 v12, v6
	;; [unrolled: 1-line block ×4, first 2 shown]
.LBB0_9:
	s_load_dwordx2 s[0:1], s[4:5], 0x28
	s_lshl_b64 s[6:7], s[14:15], 3
	v_or_b32_e32 v13, 0x80, v0
	v_or_b32_e32 v14, 0x100, v0
	;; [unrolled: 1-line block ×4, first 2 shown]
	s_add_u32 s4, s18, s6
	s_addc_u32 s5, s19, s7
                                        ; implicit-def: $sgpr14
	s_waitcnt lgkmcnt(0)
	v_cmp_gt_u64_e32 vcc_lo, s[0:1], v[11:12]
	v_cmp_le_u64_e64 s0, s[0:1], v[11:12]
	s_and_saveexec_b32 s1, s0
	s_xor_b32 s0, exec_lo, s1
; %bb.10:
	v_or_b32_e32 v13, 0x80, v0
	v_or_b32_e32 v14, 0x100, v0
	v_or_b32_e32 v15, 0x180, v0
	v_or_b32_e32 v16, 0x200, v0
	s_mov_b32 s14, 0
                                        ; implicit-def: $vgpr1_vgpr2
; %bb.11:
	s_or_saveexec_b32 s1, s0
	v_mov_b32_e32 v3, s14
	v_mov_b32_e32 v7, s14
	;; [unrolled: 1-line block ×10, first 2 shown]
                                        ; implicit-def: $vgpr39
                                        ; implicit-def: $vgpr17
                                        ; implicit-def: $vgpr40
                                        ; implicit-def: $vgpr18
                                        ; implicit-def: $vgpr37
                                        ; implicit-def: $vgpr8
                                        ; implicit-def: $vgpr38
                                        ; implicit-def: $vgpr6
                                        ; implicit-def: $vgpr35
                                        ; implicit-def: $vgpr19
                                        ; implicit-def: $vgpr36
                                        ; implicit-def: $vgpr20
                                        ; implicit-def: $vgpr33
                                        ; implicit-def: $vgpr26
                                        ; implicit-def: $vgpr34
                                        ; implicit-def: $vgpr28
                                        ; implicit-def: $vgpr29
                                        ; implicit-def: $vgpr23
                                        ; implicit-def: $vgpr30
                                        ; implicit-def: $vgpr24
	s_xor_b32 exec_lo, exec_lo, s1
	s_cbranch_execz .LBB0_13
; %bb.12:
	s_add_u32 s6, s16, s6
	s_addc_u32 s7, s17, s7
	v_or_b32_e32 v24, 0x280, v0
	s_load_dwordx2 s[6:7], s[6:7], 0x0
	v_or_b32_e32 v26, 0x500, v0
	v_mad_u64_u32 v[3:4], null, s20, v0, 0
	v_mad_u64_u32 v[5:6], null, s20, v24, 0
	v_or_b32_e32 v27, 0x780, v0
	v_mad_u64_u32 v[7:8], null, s20, v26, 0
	v_lshlrev_b64 v[1:2], 2, v[1:2]
	v_or_b32_e32 v29, 0x580, v0
	v_mad_u64_u32 v[17:18], null, s20, v27, 0
	v_mad_u64_u32 v[21:22], null, s21, v0, v[4:5]
	v_mov_b32_e32 v4, v6
	v_mov_b32_e32 v6, v8
	v_mad_u64_u32 v[22:23], null, s20, v13, 0
	v_mov_b32_e32 v8, v18
	s_waitcnt lgkmcnt(0)
	v_mul_lo_u32 v25, s7, v11
	v_mul_lo_u32 v28, s6, v12
	v_mad_u64_u32 v[19:20], null, s6, v11, 0
	v_or_b32_e32 v30, 0x800, v0
	v_or_b32_e32 v37, 0x380, v0
	;; [unrolled: 1-line block ×6, first 2 shown]
	v_add3_u32 v20, v20, v28, v25
	v_mad_u64_u32 v[24:25], null, s21, v24, v[4:5]
	v_mad_u64_u32 v[25:26], null, s21, v26, v[6:7]
	v_lshlrev_b64 v[18:19], 2, v[19:20]
	v_mov_b32_e32 v4, v21
	v_mad_u64_u32 v[20:21], null, s21, v27, v[8:9]
	v_mov_b32_e32 v6, v24
	v_or_b32_e32 v26, 0x300, v0
	v_add_co_u32 v18, s0, s8, v18
	v_add_co_ci_u32_e64 v19, s0, s9, v19, s0
	v_mov_b32_e32 v8, v25
	v_add_co_u32 v45, s0, v18, v1
	v_lshlrev_b64 v[3:4], 2, v[3:4]
	v_add_co_ci_u32_e64 v46, s0, v19, v2, s0
	v_lshlrev_b64 v[1:2], 2, v[5:6]
	v_lshlrev_b64 v[6:7], 2, v[7:8]
	v_mov_b32_e32 v5, v23
	v_add_co_u32 v3, s0, v45, v3
	v_mov_b32_e32 v18, v20
	v_add_co_ci_u32_e64 v4, s0, v46, v4, s0
	v_mad_u64_u32 v[19:20], null, s21, v13, v[5:6]
	v_add_co_u32 v1, s0, v45, v1
	v_mad_u64_u32 v[20:21], null, s20, v26, 0
	v_add_co_ci_u32_e64 v2, s0, v46, v2, s0
	v_add_co_u32 v5, s0, v45, v6
	v_add_co_ci_u32_e64 v6, s0, v46, v7, s0
	v_lshlrev_b64 v[7:8], 2, v[17:18]
	v_mov_b32_e32 v23, v19
	v_mad_u64_u32 v[18:19], null, s20, v29, 0
	v_mov_b32_e32 v17, v21
	v_mad_u64_u32 v[24:25], null, s20, v30, 0
	v_lshlrev_b64 v[22:23], 2, v[22:23]
	v_mad_u64_u32 v[31:32], null, s20, v39, 0
	v_mad_u64_u32 v[26:27], null, s21, v26, v[17:18]
	v_add_co_u32 v27, s0, v45, v7
	v_add_co_ci_u32_e64 v28, s0, v46, v8, s0
	v_mov_b32_e32 v7, v19
	v_mov_b32_e32 v8, v25
	;; [unrolled: 1-line block ×3, first 2 shown]
	v_add_co_u32 v22, s0, v45, v22
	v_add_co_ci_u32_e64 v23, s0, v46, v23, s0
	v_mad_u64_u32 v[25:26], null, s21, v29, v[7:8]
	v_mad_u64_u32 v[7:8], null, s21, v30, v[8:9]
	;; [unrolled: 1-line block ×3, first 2 shown]
	v_lshlrev_b64 v[20:21], 2, v[20:21]
	v_mov_b32_e32 v19, v25
	v_mov_b32_e32 v25, v7
	;; [unrolled: 1-line block ×3, first 2 shown]
	v_lshlrev_b64 v[7:8], 2, v[18:19]
	v_add_co_u32 v20, s0, v45, v20
	v_lshlrev_b64 v[18:19], 2, v[24:25]
	v_add_co_ci_u32_e64 v21, s0, v46, v21, s0
	v_add_co_u32 v33, s0, v45, v7
	v_add_co_ci_u32_e64 v34, s0, v46, v8, s0
	v_mad_u64_u32 v[24:25], null, s21, v14, v[17:18]
	v_mad_u64_u32 v[25:26], null, s20, v37, 0
	v_mov_b32_e32 v8, v32
	v_add_co_u32 v35, s0, v45, v18
	v_add_co_ci_u32_e64 v36, s0, v46, v19, s0
	v_mov_b32_e32 v30, v24
	v_mov_b32_e32 v7, v26
	v_or_b32_e32 v24, 0x880, v0
	v_mad_u64_u32 v[37:38], null, s21, v37, v[7:8]
	v_mad_u64_u32 v[38:39], null, s21, v39, v[8:9]
	s_clause 0x7
	global_load_dword v3, v[3:4], off
	global_load_dword v7, v[1:2], off
	global_load_dword v17, v[5:6], off
	global_load_dword v18, v[27:28], off
	global_load_dword v4, v[22:23], off
	global_load_dword v5, v[20:21], off
	global_load_dword v8, v[33:34], off
	global_load_dword v6, v[35:36], off
	v_mad_u64_u32 v[39:40], null, s20, v24, 0
	v_lshlrev_b64 v[19:20], 2, v[29:30]
	v_mov_b32_e32 v26, v37
	v_or_b32_e32 v34, 0x400, v0
	v_mov_b32_e32 v32, v38
	v_or_b32_e32 v36, 0x680, v0
	v_mov_b32_e32 v1, v40
	v_add_co_u32 v21, s0, v45, v19
	v_mad_u64_u32 v[27:28], null, s20, v34, 0
	v_mad_u64_u32 v[1:2], null, s21, v24, v[1:2]
	v_lshlrev_b64 v[23:24], 2, v[25:26]
	v_mad_u64_u32 v[25:26], null, s20, v15, 0
	v_add_co_ci_u32_e64 v22, s0, v46, v20, s0
	v_lshlrev_b64 v[19:20], 2, v[31:32]
	v_mov_b32_e32 v40, v1
	v_mad_u64_u32 v[29:30], null, s21, v15, v[26:27]
	v_add_co_u32 v1, s0, v45, v19
	v_add_co_ci_u32_e64 v2, s0, v46, v20, s0
	v_lshlrev_b64 v[19:20], 2, v[39:40]
	v_mad_u64_u32 v[30:31], null, s20, v36, 0
	v_or_b32_e32 v39, 0x900, v0
	v_mov_b32_e32 v26, v29
	v_add_co_u32 v32, s0, v45, v19
	v_add_co_ci_u32_e64 v33, s0, v46, v20, s0
	v_mov_b32_e32 v19, v28
	v_mov_b32_e32 v20, v31
	v_mad_u64_u32 v[28:29], null, s21, v34, v[19:20]
	v_mad_u64_u32 v[34:35], null, s20, v39, 0
	;; [unrolled: 1-line block ×3, first 2 shown]
	s_clause 0x1
	global_load_dword v19, v[1:2], off
	global_load_dword v20, v[32:33], off
	v_add_co_u32 v37, s0, v45, v23
	v_add_co_ci_u32_e64 v38, s0, v46, v24, s0
	v_mov_b32_e32 v1, v35
	v_lshlrev_b64 v[23:24], 2, v[25:26]
	v_mov_b32_e32 v31, v36
	v_mad_u64_u32 v[25:26], null, s20, v16, 0
	v_mad_u64_u32 v[1:2], null, s21, v39, v[1:2]
	v_lshlrev_b64 v[29:30], 2, v[30:31]
	v_add_co_u32 v39, s0, v45, v23
	v_add_co_ci_u32_e64 v40, s0, v46, v24, s0
	v_mad_u64_u32 v[31:32], null, s20, v41, 0
	v_mov_b32_e32 v35, v1
	v_mov_b32_e32 v1, v26
	v_lshlrev_b64 v[23:24], 2, v[27:28]
	v_add_co_u32 v27, s0, v45, v29
	v_add_co_ci_u32_e64 v28, s0, v46, v30, s0
	v_lshlrev_b64 v[29:30], 2, v[34:35]
	v_mad_u64_u32 v[1:2], null, s21, v16, v[1:2]
	v_mad_u64_u32 v[33:34], null, s20, v43, 0
	;; [unrolled: 1-line block ×3, first 2 shown]
	v_mov_b32_e32 v2, v32
	v_add_co_u32 v29, s0, v45, v29
	v_mov_b32_e32 v26, v1
	v_mov_b32_e32 v1, v34
	v_add_co_ci_u32_e64 v30, s0, v46, v30, s0
	v_mov_b32_e32 v32, v36
	s_waitcnt vmcnt(9)
	v_mad_u64_u32 v[41:42], null, s21, v41, v[2:3]
	v_mad_u64_u32 v[1:2], null, s21, v43, v[1:2]
	;; [unrolled: 1-line block ×3, first 2 shown]
	v_add_co_u32 v43, s0, v45, v23
	v_mov_b32_e32 v32, v41
	v_add_co_ci_u32_e64 v44, s0, v46, v24, s0
	v_lshlrev_b64 v[23:24], 2, v[25:26]
	v_mov_b32_e32 v36, v42
	v_mov_b32_e32 v34, v1
	v_lshlrev_b64 v[1:2], 2, v[31:32]
	s_clause 0x1
	global_load_dword v26, v[27:28], off
	global_load_dword v28, v[29:30], off
	v_add_co_u32 v29, s0, v45, v23
	v_lshlrev_b64 v[31:32], 2, v[35:36]
	v_add_co_ci_u32_e64 v30, s0, v46, v24, s0
	v_add_co_u32 v1, s0, v45, v1
	v_lshlrev_b64 v[23:24], 2, v[33:34]
	v_add_co_ci_u32_e64 v2, s0, v46, v2, s0
	v_add_co_u32 v31, s0, v45, v31
	v_add_co_ci_u32_e64 v32, s0, v46, v32, s0
	v_add_co_u32 v33, s0, v45, v23
	v_add_co_ci_u32_e64 v34, s0, v46, v24, s0
	s_clause 0x7
	global_load_dword v23, v[1:2], off
	global_load_dword v24, v[31:32], off
	;; [unrolled: 1-line block ×8, first 2 shown]
	s_waitcnt vmcnt(17)
	v_lshrrev_b32_e32 v39, 16, v17
	s_waitcnt vmcnt(16)
	v_lshrrev_b32_e32 v40, 16, v18
	;; [unrolled: 2-line block ×10, first 2 shown]
.LBB0_13:
	s_or_b32 exec_lo, exec_lo, s1
	v_lshrrev_b32_e32 v1, 16, v3
	v_lshrrev_b32_e32 v2, 16, v7
	v_sub_f16_e32 v18, v7, v18
	v_lshrrev_b32_e32 v41, 16, v4
	s_waitcnt vmcnt(5)
	v_sub_f16_e32 v19, v31, v19
	v_sub_f16_e32 v39, v1, v39
	v_sub_f16_e32 v40, v2, v40
	v_fma_f16 v7, v7, 2.0, -v18
	s_waitcnt vmcnt(4)
	v_sub_f16_e32 v20, v32, v20
	s_waitcnt vmcnt(2)
	v_lshrrev_b32_e32 v46, 16, v27
	v_fma_f16 v1, v1, 2.0, -v39
	v_fma_f16 v2, v2, 2.0, -v40
	v_add_f16_e32 v43, v39, v18
	v_sub_f16_e32 v17, v3, v17
	v_sub_f16_e32 v34, v46, v34
	v_sub_f16_e32 v8, v4, v8
	v_sub_f16_e32 v42, v1, v2
	v_lshrrev_b32_e32 v2, 16, v5
	v_sub_f16_e32 v26, v25, v26
	v_sub_f16_e32 v28, v27, v28
	s_waitcnt vmcnt(0)
	v_lshrrev_b32_e32 v48, 16, v22
	v_fma_f16 v44, v1, 2.0, -v42
	v_sub_f16_e32 v1, v5, v6
	v_sub_f16_e32 v6, v41, v37
	v_fma_f16 v37, v39, 2.0, -v43
	v_sub_f16_e32 v18, v2, v38
	v_lshrrev_b32_e32 v39, 16, v31
	v_fma_f16 v5, v5, 2.0, -v1
	v_fma_f16 v38, v41, 2.0, -v6
	v_lshrrev_b32_e32 v41, 16, v32
	v_fma_f16 v2, v2, 2.0, -v18
	v_sub_f16_e32 v35, v39, v35
	v_fma_f16 v32, v32, 2.0, -v20
	v_sub_f16_e32 v23, v21, v23
	v_sub_f16_e32 v36, v41, v36
	;; [unrolled: 1-line block ×3, first 2 shown]
	v_fma_f16 v2, v31, 2.0, -v19
	v_fma_f16 v31, v39, 2.0, -v35
	v_add_f16_e32 v47, v35, v20
	v_fma_f16 v39, v41, 2.0, -v36
	v_add_f16_e32 v41, v6, v1
	v_sub_f16_e32 v1, v2, v32
	v_sub_f16_e32 v24, v22, v24
	v_fma_f16 v3, v3, 2.0, -v17
	v_sub_f16_e32 v32, v31, v39
	v_lshrrev_b32_e32 v39, 16, v25
	v_fma_f16 v4, v4, 2.0, -v8
	v_fma_f16 v25, v25, 2.0, -v26
	;; [unrolled: 1-line block ×3, first 2 shown]
	v_sub_f16_e32 v30, v48, v30
	v_sub_f16_e32 v33, v39, v33
	v_fma_f16 v22, v22, 2.0, -v24
	v_sub_f16_e32 v7, v3, v7
	v_sub_f16_e32 v40, v17, v40
	;; [unrolled: 1-line block ×3, first 2 shown]
	v_fma_f16 v20, v39, 2.0, -v33
	v_fma_f16 v39, v46, 2.0, -v34
	v_lshrrev_b32_e32 v46, 16, v21
	v_sub_f16_e32 v34, v26, v34
	v_fma_f16 v21, v21, 2.0, -v23
	v_sub_f16_e32 v18, v8, v18
	v_sub_f16_e32 v39, v20, v39
	;; [unrolled: 1-line block ×5, first 2 shown]
	v_fma_f16 v3, v3, 2.0, -v7
	v_fma_f16 v49, v20, 2.0, -v39
	;; [unrolled: 1-line block ×3, first 2 shown]
	v_sub_f16_e32 v26, v23, v30
	v_fma_f16 v17, v17, 2.0, -v40
	v_fma_f16 v4, v4, 2.0, -v5
	;; [unrolled: 1-line block ×6, first 2 shown]
	v_sub_f16_e32 v29, v46, v29
	v_fma_f16 v21, v21, 2.0, -v22
	v_fma_f16 v23, v23, 2.0, -v26
	v_lshl_add_u32 v50, v0, 3, 0
	v_pack_b32_f16 v7, v7, v40
	v_pack_b32_f16 v3, v3, v17
	v_lshl_add_u32 v17, v13, 3, 0
	v_pack_b32_f16 v5, v5, v18
	v_pack_b32_f16 v4, v4, v8
	;; [unrolled: 3-line block ×3, first 2 shown]
	v_fma_f16 v48, v48, 2.0, -v30
	v_add_f16_e32 v30, v29, v24
	v_lshl_add_u32 v19, v15, 3, 0
	v_pack_b32_f16 v8, v27, v34
	v_pack_b32_f16 v24, v25, v20
	v_lshl_add_u32 v20, v16, 3, 0
	v_pack_b32_f16 v22, v22, v26
	v_pack_b32_f16 v21, v21, v23
	s_load_dwordx2 s[0:1], s[4:5], 0x0
	v_fma_f16 v38, v38, 2.0, -v45
	v_fma_f16 v6, v6, 2.0, -v41
	;; [unrolled: 1-line block ×3, first 2 shown]
	ds_write2_b32 v50, v3, v7 offset1:1
	ds_write2_b32 v17, v4, v5 offset1:1
	ds_write2_b32 v18, v2, v1 offset1:1
	ds_write2_b32 v19, v24, v8 offset1:1
	ds_write2_b32 v20, v21, v22 offset1:1
	v_mad_i32_i24 v21, v0, -6, v50
	v_pack_b32_f16 v4, v42, v43
	v_pack_b32_f16 v5, v44, v37
	v_add_f16_e32 v28, v33, v28
	v_mad_i32_i24 v22, v13, -6, v17
	v_mad_i32_i24 v23, v14, -6, v18
	;; [unrolled: 1-line block ×3, first 2 shown]
	v_fma_f16 v31, v31, 2.0, -v32
	v_fma_f16 v35, v35, 2.0, -v47
	v_sub_f16_e32 v48, v46, v48
	s_waitcnt lgkmcnt(0)
	s_barrier
	buffer_gl0_inv
	ds_read_u16 v1, v21
	ds_read_u16 v34, v21 offset:1280
	ds_read_u16 v36, v21 offset:1536
	;; [unrolled: 1-line block ×4, first 2 shown]
	v_mad_i32_i24 v25, v16, -6, v20
	ds_read_u16 v52, v21 offset:3072
	ds_read_u16 v53, v21 offset:3328
	ds_read_u16 v27, v22
	ds_read_u16 v26, v23
	;; [unrolled: 1-line block ×4, first 2 shown]
	ds_read_u16 v54, v21 offset:2816
	ds_read_u16 v55, v21 offset:2560
	;; [unrolled: 1-line block ×9, first 2 shown]
	s_waitcnt lgkmcnt(0)
	s_barrier
	buffer_gl0_inv
	ds_write2_b32 v50, v5, v4 offset1:1
	v_pack_b32_f16 v5, v38, v6
	v_pack_b32_f16 v6, v32, v47
	v_and_b32_e32 v32, 3, v0
	v_fma_f16 v33, v33, 2.0, -v28
	v_fma_f16 v46, v46, 2.0, -v48
	;; [unrolled: 1-line block ×3, first 2 shown]
	v_pack_b32_f16 v4, v45, v41
	v_pack_b32_f16 v7, v31, v35
	v_mul_u32_u24_e32 v31, 3, v32
	v_pack_b32_f16 v8, v39, v28
	v_pack_b32_f16 v28, v49, v33
	v_pack_b32_f16 v30, v48, v30
	v_pack_b32_f16 v29, v46, v29
	ds_write2_b32 v17, v5, v4 offset1:1
	ds_write2_b32 v18, v7, v6 offset1:1
	;; [unrolled: 1-line block ×3, first 2 shown]
	v_lshlrev_b32_e32 v4, 2, v31
	v_lshlrev_b32_e32 v5, 2, v13
	;; [unrolled: 1-line block ×3, first 2 shown]
	ds_write2_b32 v20, v29, v30 offset1:1
	s_waitcnt lgkmcnt(0)
	s_barrier
	buffer_gl0_inv
	global_load_dwordx3 v[28:30], v4, s[12:13]
	v_lshlrev_b32_e32 v4, 2, v0
	v_lshlrev_b32_e32 v7, 2, v15
	;; [unrolled: 1-line block ×3, first 2 shown]
	v_and_or_b32 v33, 0x3f0, v5, v32
	v_and_or_b32 v35, 0x5f0, v6, v32
	;; [unrolled: 1-line block ×5, first 2 shown]
	v_lshl_add_u32 v47, v33, 1, 0
	v_lshl_add_u32 v48, v35, 1, 0
	;; [unrolled: 1-line block ×5, first 2 shown]
	ds_read_u16 v31, v21 offset:3840
	ds_read_u16 v32, v21 offset:2560
	;; [unrolled: 1-line block ×8, first 2 shown]
	ds_read_u16 v45, v21
	ds_read_u16 v60, v21 offset:3072
	ds_read_u16 v61, v21 offset:3328
	;; [unrolled: 1-line block ×7, first 2 shown]
	ds_read_u16 v67, v22
	ds_read_u16 v68, v23
	;; [unrolled: 1-line block ×4, first 2 shown]
	s_waitcnt vmcnt(0) lgkmcnt(0)
	s_barrier
	buffer_gl0_inv
	v_mul_f16_sdwa v71, v35, v28 dst_sel:DWORD dst_unused:UNUSED_PAD src0_sel:DWORD src1_sel:WORD_1
	v_mul_f16_sdwa v72, v34, v28 dst_sel:DWORD dst_unused:UNUSED_PAD src0_sel:DWORD src1_sel:WORD_1
	v_mul_f16_sdwa v73, v32, v29 dst_sel:DWORD dst_unused:UNUSED_PAD src0_sel:DWORD src1_sel:WORD_1
	v_mul_f16_sdwa v74, v55, v29 dst_sel:DWORD dst_unused:UNUSED_PAD src0_sel:DWORD src1_sel:WORD_1
	v_mul_f16_sdwa v75, v31, v30 dst_sel:DWORD dst_unused:UNUSED_PAD src0_sel:DWORD src1_sel:WORD_1
	v_mul_f16_sdwa v76, v42, v30 dst_sel:DWORD dst_unused:UNUSED_PAD src0_sel:DWORD src1_sel:WORD_1
	v_mul_f16_sdwa v77, v38, v28 dst_sel:DWORD dst_unused:UNUSED_PAD src0_sel:DWORD src1_sel:WORD_1
	v_mul_f16_sdwa v79, v33, v29 dst_sel:DWORD dst_unused:UNUSED_PAD src0_sel:DWORD src1_sel:WORD_1
	v_mul_f16_sdwa v80, v54, v29 dst_sel:DWORD dst_unused:UNUSED_PAD src0_sel:DWORD src1_sel:WORD_1
	v_mul_f16_sdwa v81, v62, v30 dst_sel:DWORD dst_unused:UNUSED_PAD src0_sel:DWORD src1_sel:WORD_1
	v_mul_f16_sdwa v78, v36, v28 dst_sel:DWORD dst_unused:UNUSED_PAD src0_sel:DWORD src1_sel:WORD_1
	v_mul_f16_sdwa v83, v39, v28 dst_sel:DWORD dst_unused:UNUSED_PAD src0_sel:DWORD src1_sel:WORD_1
	v_mul_f16_sdwa v84, v40, v28 dst_sel:DWORD dst_unused:UNUSED_PAD src0_sel:DWORD src1_sel:WORD_1
	v_mul_f16_sdwa v85, v60, v29 dst_sel:DWORD dst_unused:UNUSED_PAD src0_sel:DWORD src1_sel:WORD_1
	v_mul_f16_sdwa v86, v52, v29 dst_sel:DWORD dst_unused:UNUSED_PAD src0_sel:DWORD src1_sel:WORD_1
	v_mul_f16_sdwa v87, v63, v30 dst_sel:DWORD dst_unused:UNUSED_PAD src0_sel:DWORD src1_sel:WORD_1
	v_mul_f16_sdwa v88, v57, v30 dst_sel:DWORD dst_unused:UNUSED_PAD src0_sel:DWORD src1_sel:WORD_1
	v_mul_f16_sdwa v89, v41, v28 dst_sel:DWORD dst_unused:UNUSED_PAD src0_sel:DWORD src1_sel:WORD_1
	v_mul_f16_sdwa v90, v51, v28 dst_sel:DWORD dst_unused:UNUSED_PAD src0_sel:DWORD src1_sel:WORD_1
	v_mul_f16_sdwa v91, v61, v29 dst_sel:DWORD dst_unused:UNUSED_PAD src0_sel:DWORD src1_sel:WORD_1
	v_mul_f16_sdwa v92, v53, v29 dst_sel:DWORD dst_unused:UNUSED_PAD src0_sel:DWORD src1_sel:WORD_1
	v_mul_f16_sdwa v95, v44, v28 dst_sel:DWORD dst_unused:UNUSED_PAD src0_sel:DWORD src1_sel:WORD_1
	v_fma_f16 v34, v34, v28, -v71
	v_mul_f16_sdwa v71, v56, v28 dst_sel:DWORD dst_unused:UNUSED_PAD src0_sel:DWORD src1_sel:WORD_1
	v_fmac_f16_e32 v72, v35, v28
	v_mul_f16_sdwa v35, v66, v29 dst_sel:DWORD dst_unused:UNUSED_PAD src0_sel:DWORD src1_sel:WORD_1
	v_fma_f16 v55, v55, v29, -v73
	v_mul_f16_sdwa v73, v43, v29 dst_sel:DWORD dst_unused:UNUSED_PAD src0_sel:DWORD src1_sel:WORD_1
	v_fmac_f16_e32 v74, v32, v29
	v_mul_f16_sdwa v32, v65, v30 dst_sel:DWORD dst_unused:UNUSED_PAD src0_sel:DWORD src1_sel:WORD_1
	v_mul_f16_sdwa v82, v37, v30 dst_sel:DWORD dst_unused:UNUSED_PAD src0_sel:DWORD src1_sel:WORD_1
	;; [unrolled: 1-line block ×4, first 2 shown]
	v_fma_f16 v42, v42, v30, -v75
	v_mul_f16_sdwa v75, v59, v30 dst_sel:DWORD dst_unused:UNUSED_PAD src0_sel:DWORD src1_sel:WORD_1
	v_fmac_f16_e32 v76, v31, v30
	v_fma_f16 v31, v36, v28, -v77
	v_fma_f16 v36, v54, v29, -v79
	v_fmac_f16_e32 v80, v33, v29
	v_fma_f16 v33, v37, v30, -v81
	v_fmac_f16_e32 v78, v38, v28
	;; [unrolled: 2-line block ×11, first 2 shown]
	v_fmac_f16_e32 v75, v65, v30
	v_sub_f16_e32 v30, v1, v55
	v_sub_f16_e32 v32, v72, v76
	;; [unrolled: 1-line block ×17, first 2 shown]
	v_fma_f16 v59, v72, 2.0, -v32
	v_sub_f16_e32 v32, v30, v32
	v_fma_f16 v1, v1, 2.0, -v30
	v_fma_f16 v34, v34, 2.0, -v35
	v_sub_f16_e32 v42, v45, v74
	v_sub_f16_e32 v55, v67, v80
	v_fma_f16 v27, v27, 2.0, -v36
	v_fma_f16 v31, v31, 2.0, -v33
	v_sub_f16_e32 v61, v38, v39
	v_fma_f16 v2, v2, 2.0, -v28
	v_fma_f16 v52, v52, 2.0, -v54
	v_sub_f16_e32 v44, v90, v94
	v_sub_f16_e32 v60, v36, v43
	v_fma_f16 v26, v26, 2.0, -v38
	v_fma_f16 v37, v37, 2.0, -v53
	;; [unrolled: 1-line block ×4, first 2 shown]
	v_sub_f16_e32 v63, v28, v29
	v_fma_f16 v66, v68, 2.0, -v56
	v_fma_f16 v68, v69, 2.0, -v57
	;; [unrolled: 1-line block ×5, first 2 shown]
	v_sub_f16_e32 v30, v1, v34
	v_fma_f16 v45, v45, 2.0, -v42
	v_add_f16_e32 v64, v42, v35
	v_fma_f16 v35, v78, 2.0, -v43
	v_fma_f16 v43, v67, 2.0, -v55
	v_sub_f16_e32 v31, v27, v31
	v_fma_f16 v34, v38, 2.0, -v61
	v_sub_f16_e32 v38, v2, v52
	v_sub_f16_e32 v62, v41, v44
	v_fma_f16 v39, v84, 2.0, -v39
	v_add_f16_e32 v67, v55, v33
	ds_write_b16 v46, v32 offset:24
	v_fma_f16 v32, v36, 2.0, -v60
	v_sub_f16_e32 v33, v26, v37
	v_sub_f16_e32 v36, v3, v40
	v_fma_f16 v1, v1, 2.0, -v30
	v_sub_f16_e32 v59, v45, v59
	v_sub_f16_e32 v71, v43, v35
	v_fma_f16 v27, v27, 2.0, -v31
	v_fma_f16 v2, v2, 2.0, -v38
	v_fma_f16 v37, v41, 2.0, -v62
	v_fma_f16 v28, v28, 2.0, -v63
	v_sub_f16_e32 v72, v66, v39
	ds_write_b16 v46, v29 offset:8
	ds_write_b16 v46, v30 offset:16
	v_fma_f16 v26, v26, 2.0, -v33
	v_fma_f16 v3, v3, 2.0, -v36
	ds_write_b16 v46, v1
	ds_write_b16 v47, v27
	ds_write_b16 v47, v32 offset:8
	ds_write_b16 v47, v31 offset:16
	ds_write_b16 v47, v60 offset:24
	ds_write_b16 v48, v26
	ds_write_b16 v48, v34 offset:8
	ds_write_b16 v48, v33 offset:16
	ds_write_b16 v48, v61 offset:24
	;; [unrolled: 4-line block ×4, first 2 shown]
	v_add_f16_e32 v2, v56, v53
	v_fma_f16 v73, v45, 2.0, -v59
	v_fma_f16 v74, v43, 2.0, -v71
	;; [unrolled: 1-line block ×7, first 2 shown]
	s_waitcnt lgkmcnt(0)
	s_barrier
	buffer_gl0_inv
	ds_read_u16 v29, v21
	ds_read_u16 v42, v21 offset:1280
	ds_read_u16 v39, v21 offset:1536
	;; [unrolled: 1-line block ×6, first 2 shown]
	ds_read_u16 v30, v22
	ds_read_u16 v28, v23
	;; [unrolled: 1-line block ×4, first 2 shown]
	ds_read_u16 v41, v21 offset:2816
	ds_read_u16 v44, v21 offset:2560
	;; [unrolled: 1-line block ×9, first 2 shown]
	s_waitcnt lgkmcnt(0)
	s_barrier
	buffer_gl0_inv
	ds_write_b16 v46, v73
	ds_write_b16 v46, v52 offset:8
	ds_write_b16 v46, v59 offset:16
	;; [unrolled: 1-line block ×3, first 2 shown]
	ds_write_b16 v47, v74
	ds_write_b16 v47, v55 offset:8
	ds_write_b16 v47, v71 offset:16
	;; [unrolled: 1-line block ×3, first 2 shown]
	ds_write_b16 v48, v1
	ds_write_b16 v48, v53 offset:8
	ds_write_b16 v48, v72 offset:16
	v_and_b32_e32 v53, 15, v0
	v_sub_f16_e32 v3, v68, v65
	v_add_f16_e32 v46, v57, v51
	v_sub_f16_e32 v51, v69, v70
	v_add_f16_e32 v52, v58, v54
	v_mul_u32_u24_e32 v1, 3, v53
	v_fma_f16 v54, v68, 2.0, -v3
	v_fma_f16 v56, v57, 2.0, -v46
	;; [unrolled: 1-line block ×4, first 2 shown]
	v_lshlrev_b32_e32 v1, 2, v1
	ds_write_b16 v48, v2 offset:24
	ds_write_b16 v49, v54
	ds_write_b16 v49, v56 offset:8
	ds_write_b16 v49, v3 offset:16
	;; [unrolled: 1-line block ×3, first 2 shown]
	ds_write_b16 v50, v57
	ds_write_b16 v50, v58 offset:8
	ds_write_b16 v50, v51 offset:16
	;; [unrolled: 1-line block ×3, first 2 shown]
	s_waitcnt lgkmcnt(0)
	s_barrier
	buffer_gl0_inv
	global_load_dwordx3 v[1:3], v1, s[12:13] offset:48
	v_and_or_b32 v4, 0x1c0, v4, v53
	v_and_or_b32 v5, 0x3c0, v5, v53
	;; [unrolled: 1-line block ×5, first 2 shown]
	ds_read_u16 v48, v21 offset:3840
	ds_read_u16 v49, v21 offset:2560
	;; [unrolled: 1-line block ×15, first 2 shown]
	ds_read_u16 v63, v21
	ds_read_u16 v64, v22
	;; [unrolled: 1-line block ×5, first 2 shown]
	v_and_b32_e32 v47, 63, v0
	v_lshl_add_u32 v4, v4, 1, 0
	v_lshl_add_u32 v5, v5, 1, 0
	;; [unrolled: 1-line block ×4, first 2 shown]
	v_mul_u32_u24_e32 v46, 9, v47
	v_lshl_add_u32 v8, v8, 1, 0
	s_waitcnt vmcnt(0) lgkmcnt(0)
	s_barrier
	buffer_gl0_inv
	v_lshlrev_b32_e32 v46, 2, v46
	v_mul_f16_sdwa v68, v51, v1 dst_sel:DWORD dst_unused:UNUSED_PAD src0_sel:DWORD src1_sel:WORD_1
	v_mul_f16_sdwa v69, v42, v1 dst_sel:DWORD dst_unused:UNUSED_PAD src0_sel:DWORD src1_sel:WORD_1
	;; [unrolled: 1-line block ×26, first 2 shown]
	v_fma_f16 v42, v42, v1, -v68
	v_mul_f16_sdwa v68, v61, v3 dst_sel:DWORD dst_unused:UNUSED_PAD src0_sel:DWORD src1_sel:WORD_1
	v_fmac_f16_e32 v69, v51, v1
	v_mul_f16_sdwa v51, v34, v3 dst_sel:DWORD dst_unused:UNUSED_PAD src0_sel:DWORD src1_sel:WORD_1
	v_mul_f16_sdwa v85, v40, v3 dst_sel:DWORD dst_unused:UNUSED_PAD src0_sel:DWORD src1_sel:WORD_1
	;; [unrolled: 1-line block ×3, first 2 shown]
	v_fma_f16 v44, v44, v2, -v70
	v_fmac_f16_e32 v71, v49, v2
	v_fma_f16 v45, v45, v3, -v72
	v_fmac_f16_e32 v73, v48, v3
	v_fma_f16 v39, v39, v1, -v74
	v_fma_f16 v41, v41, v2, -v76
	;; [unrolled: 1-line block ×3, first 2 shown]
	v_fmac_f16_e32 v75, v52, v1
	v_fmac_f16_e32 v77, v50, v2
	;; [unrolled: 1-line block ×3, first 2 shown]
	v_fma_f16 v35, v35, v1, -v80
	v_fmac_f16_e32 v81, v53, v1
	v_fma_f16 v36, v36, v2, -v82
	v_fmac_f16_e32 v83, v55, v2
	v_fma_f16 v40, v40, v3, -v84
	v_fma_f16 v31, v31, v1, -v86
	v_fmac_f16_e32 v87, v54, v1
	v_fma_f16 v32, v32, v2, -v88
	v_fmac_f16_e32 v89, v56, v2
	v_fma_f16 v37, v37, v3, -v90
	;; [unrolled: 5-line block ×3, first 2 shown]
	v_fmac_f16_e32 v51, v61, v3
	v_fmac_f16_e32 v85, v59, v3
	;; [unrolled: 1-line block ×3, first 2 shown]
	v_sub_f16_e32 v3, v29, v44
	v_sub_f16_e32 v34, v63, v71
	;; [unrolled: 1-line block ×20, first 2 shown]
	v_fma_f16 v29, v29, 2.0, -v3
	v_fma_f16 v55, v63, 2.0, -v34
	;; [unrolled: 1-line block ×6, first 2 shown]
	v_sub_f16_e32 v44, v3, v44
	v_fma_f16 v57, v75, 2.0, -v45
	v_fma_f16 v28, v28, 2.0, -v36
	v_fma_f16 v35, v35, 2.0, -v40
	v_fma_f16 v27, v27, 2.0, -v32
	v_fma_f16 v31, v31, 2.0, -v37
	v_fma_f16 v26, v26, 2.0, -v1
	v_fma_f16 v33, v33, 2.0, -v2
	v_add_f16_e32 v61, v34, v38
	v_fma_f16 v38, v64, 2.0, -v51
	v_fma_f16 v58, v81, 2.0, -v48
	;; [unrolled: 1-line block ×4, first 2 shown]
	v_add_f16_e32 v62, v51, v43
	v_fma_f16 v43, v65, 2.0, -v52
	v_add_f16_e32 v63, v52, v40
	v_fma_f16 v40, v66, 2.0, -v53
	v_add_f16_e32 v64, v53, v37
	v_fma_f16 v37, v67, 2.0, -v54
	v_sub_f16_e32 v42, v29, v42
	v_sub_f16_e32 v56, v55, v56
	;; [unrolled: 1-line block ×7, first 2 shown]
	v_fma_f16 v3, v3, 2.0, -v44
	v_sub_f16_e32 v35, v28, v35
	v_sub_f16_e32 v31, v27, v31
	;; [unrolled: 1-line block ×4, first 2 shown]
	v_add_f16_e32 v2, v54, v2
	v_sub_f16_e32 v58, v43, v58
	v_sub_f16_e32 v59, v40, v59
	;; [unrolled: 1-line block ×3, first 2 shown]
	v_fma_f16 v29, v29, 2.0, -v42
	v_fma_f16 v55, v55, 2.0, -v56
	;; [unrolled: 1-line block ×8, first 2 shown]
	ds_write_b16 v4, v44 offset:96
	v_fma_f16 v28, v28, 2.0, -v35
	v_fma_f16 v27, v27, 2.0, -v31
	;; [unrolled: 1-line block ×3, first 2 shown]
	ds_write_b16 v4, v3 offset:32
	ds_write_b16 v4, v42 offset:64
	v_fma_f16 v3, v38, 2.0, -v57
	v_fma_f16 v51, v51, 2.0, -v62
	;; [unrolled: 1-line block ×8, first 2 shown]
	ds_write_b16 v4, v29
	ds_write_b16 v5, v30
	ds_write_b16 v5, v41 offset:32
	ds_write_b16 v5, v39 offset:64
	ds_write_b16 v5, v45 offset:96
	ds_write_b16 v6, v28
	ds_write_b16 v6, v36 offset:32
	ds_write_b16 v6, v35 offset:64
	ds_write_b16 v6, v48 offset:96
	;; [unrolled: 4-line block ×4, first 2 shown]
	s_waitcnt lgkmcnt(0)
	s_barrier
	buffer_gl0_inv
	ds_read_u16 v26, v21
	ds_read_u16 v39, v21 offset:768
	ds_read_u16 v32, v21 offset:2560
	;; [unrolled: 1-line block ×15, first 2 shown]
	ds_read_u16 v44, v25
	ds_read_u16 v45, v23
	;; [unrolled: 1-line block ×3, first 2 shown]
	ds_read_u16 v31, v21 offset:4864
	s_waitcnt lgkmcnt(0)
	s_barrier
	buffer_gl0_inv
	ds_write_b16 v4, v55
	ds_write_b16 v4, v65 offset:32
	ds_write_b16 v4, v56 offset:64
	ds_write_b16 v4, v61 offset:96
	ds_write_b16 v5, v3
	ds_write_b16 v5, v51 offset:32
	ds_write_b16 v5, v57 offset:64
	ds_write_b16 v5, v62 offset:96
	;; [unrolled: 4-line block ×5, first 2 shown]
	s_waitcnt lgkmcnt(0)
	s_barrier
	buffer_gl0_inv
	s_clause 0x2
	global_load_dwordx4 v[1:4], v46, s[12:13] offset:240
	global_load_dwordx4 v[5:8], v46, s[12:13] offset:256
	global_load_dword v46, v46, s[12:13] offset:272
	v_lshrrev_b32_e32 v49, 6, v0
	v_lshrrev_b32_e32 v48, 6, v13
	v_mul_u32_u24_e32 v49, 0x280, v49
	v_mul_lo_u32 v48, 0x280, v48
	v_or_b32_e32 v49, v49, v47
	v_or_b32_e32 v47, v48, v47
	v_lshl_add_u32 v48, v49, 1, 0
	ds_read_u16 v49, v23
	ds_read_u16 v50, v25
	ds_read_u16 v51, v21 offset:768
	ds_read_u16 v52, v21 offset:2560
	ds_read_u16 v53, v21 offset:2304
	ds_read_u16 v54, v21 offset:2048
	ds_read_u16 v55, v21 offset:1792
	ds_read_u16 v56, v21 offset:1536
	ds_read_u16 v57, v21 offset:1280
	ds_read_u16 v58, v21 offset:4608
	ds_read_u16 v59, v21 offset:4352
	ds_read_u16 v60, v21 offset:4096
	ds_read_u16 v61, v21 offset:3840
	ds_read_u16 v62, v21 offset:3584
	ds_read_u16 v63, v21 offset:3328
	ds_read_u16 v64, v21 offset:3072
	ds_read_u16 v65, v21 offset:2816
	ds_read_u16 v66, v21 offset:4864
	ds_read_u16 v67, v21
	ds_read_u16 v68, v22
	s_waitcnt vmcnt(0) lgkmcnt(0)
	s_barrier
	buffer_gl0_inv
	v_lshl_add_u32 v47, v47, 1, 0
	v_mul_f16_sdwa v69, v49, v1 dst_sel:DWORD dst_unused:UNUSED_PAD src0_sel:DWORD src1_sel:WORD_1
	v_mul_f16_sdwa v70, v45, v1 dst_sel:DWORD dst_unused:UNUSED_PAD src0_sel:DWORD src1_sel:WORD_1
	;; [unrolled: 1-line block ×27, first 2 shown]
	v_fma_f16 v45, v45, v1, -v69
	v_mul_f16_sdwa v69, v33, v6 dst_sel:DWORD dst_unused:UNUSED_PAD src0_sel:DWORD src1_sel:WORD_1
	v_fmac_f16_e32 v70, v49, v1
	v_mul_f16_sdwa v49, v61, v7 dst_sel:DWORD dst_unused:UNUSED_PAD src0_sel:DWORD src1_sel:WORD_1
	v_fma_f16 v44, v44, v2, -v71
	v_mul_f16_sdwa v71, v30, v7 dst_sel:DWORD dst_unused:UNUSED_PAD src0_sel:DWORD src1_sel:WORD_1
	v_fmac_f16_e32 v72, v50, v2
	v_mul_f16_sdwa v50, v59, v8 dst_sel:DWORD dst_unused:UNUSED_PAD src0_sel:DWORD src1_sel:WORD_1
	v_fma_f16 v43, v43, v3, -v73
	v_mul_f16_sdwa v73, v29, v8 dst_sel:DWORD dst_unused:UNUSED_PAD src0_sel:DWORD src1_sel:WORD_1
	v_fmac_f16_e32 v74, v56, v3
	v_mul_f16_sdwa v56, v58, v46 dst_sel:DWORD dst_unused:UNUSED_PAD src0_sel:DWORD src1_sel:WORD_1
	v_fma_f16 v42, v42, v4, -v75
	v_mul_f16_sdwa v75, v28, v46 dst_sel:DWORD dst_unused:UNUSED_PAD src0_sel:DWORD src1_sel:WORD_1
	v_fmac_f16_e32 v76, v54, v4
	v_mul_f16_sdwa v54, v66, v46 dst_sel:DWORD dst_unused:UNUSED_PAD src0_sel:DWORD src1_sel:WORD_1
	v_fma_f16 v39, v39, v1, -v77
	v_fmac_f16_e32 v78, v51, v1
	v_fma_f16 v1, v41, v2, -v79
	v_fmac_f16_e32 v80, v57, v2
	;; [unrolled: 2-line block ×4, first 2 shown]
	v_fma_f16 v4, v32, v5, -v85
	v_fma_f16 v32, v40, v6, -v87
	v_fmac_f16_e32 v88, v64, v6
	v_fma_f16 v34, v34, v8, -v91
	v_fmac_f16_e32 v92, v60, v8
	v_fmac_f16_e32 v86, v52, v5
	v_fma_f16 v35, v37, v7, -v89
	v_fmac_f16_e32 v90, v62, v7
	v_fma_f16 v36, v36, v5, -v93
	;; [unrolled: 2-line block ×6, first 2 shown]
	v_fmac_f16_e32 v75, v58, v46
	v_mul_f16_sdwa v77, v31, v46 dst_sel:DWORD dst_unused:UNUSED_PAD src0_sel:DWORD src1_sel:WORD_1
	v_fma_f16 v28, v31, v46, -v54
	v_sub_f16_e32 v29, v44, v42
	v_sub_f16_e32 v30, v34, v32
	v_add_f16_e32 v31, v42, v32
	v_add_f16_e32 v33, v44, v34
	v_sub_f16_e32 v38, v42, v44
	v_sub_f16_e32 v40, v32, v34
	v_add_f16_e32 v49, v76, v88
	v_add_f16_e32 v50, v72, v92
	v_sub_f16_e32 v52, v76, v72
	v_sub_f16_e32 v53, v88, v92
	;; [unrolled: 1-line block ×4, first 2 shown]
	v_add_f16_e32 v56, v4, v35
	v_add_f16_e32 v57, v43, v8
	v_sub_f16_e32 v58, v4, v43
	v_sub_f16_e32 v59, v35, v8
	;; [unrolled: 1-line block ×4, first 2 shown]
	v_fmac_f16_e32 v77, v66, v46
	v_sub_f16_e32 v41, v72, v76
	v_sub_f16_e32 v46, v92, v88
	;; [unrolled: 1-line block ×6, first 2 shown]
	v_add_f16_e32 v85, v3, v5
	v_add_f16_e32 v87, v1, v7
	v_sub_f16_e32 v91, v3, v1
	v_sub_f16_e32 v93, v5, v7
	v_add_f16_e32 v37, v26, v44
	v_add_f16_e32 v51, v67, v72
	;; [unrolled: 1-line block ×4, first 2 shown]
	v_sub_f16_e32 v95, v80, v84
	v_add_f16_e32 v29, v29, v30
	v_sub_f16_e32 v30, v73, v69
	v_fma_f16 v31, -0.5, v31, v26
	v_fmac_f16_e32 v26, -0.5, v33
	v_add_f16_e32 v33, v84, v69
	v_add_f16_e32 v38, v38, v40
	;; [unrolled: 1-line block ×3, first 2 shown]
	v_fma_f16 v49, -0.5, v49, v67
	v_fmac_f16_e32 v67, -0.5, v50
	v_sub_f16_e32 v50, v84, v80
	v_add_f16_e32 v52, v52, v53
	v_sub_f16_e32 v53, v69, v73
	v_add_f16_e32 v60, v45, v43
	v_add_f16_e32 v54, v54, v55
	v_sub_f16_e32 v55, v2, v36
	v_fma_f16 v56, -0.5, v56, v45
	v_fmac_f16_e32 v45, -0.5, v57
	v_sub_f16_e32 v57, v28, v6
	v_add_f16_e32 v58, v58, v59
	v_add_f16_e32 v59, v36, v6
	;; [unrolled: 1-line block ×8, first 2 shown]
	v_sub_f16_e32 v79, v36, v2
	v_add_f16_e32 v81, v81, v83
	v_sub_f16_e32 v83, v6, v28
	v_fma_f16 v85, -0.5, v85, v27
	v_fmac_f16_e32 v27, -0.5, v87
	v_sub_f16_e32 v87, v82, v94
	v_add_f16_e32 v91, v91, v93
	v_sub_f16_e32 v93, v77, v71
	v_add_f16_e32 v65, v70, v74
	v_fma_f16 v63, -0.5, v63, v70
	v_fmac_f16_e32 v70, -0.5, v64
	v_add_f16_e32 v64, v39, v2
	v_add_f16_e32 v30, v95, v30
	v_add_f16_e32 v95, v94, v71
	v_fma_f16 v33, -0.5, v33, v68
	v_fmac_f16_e32 v68, -0.5, v40
	v_add_f16_e32 v40, v82, v77
	v_add_f16_e32 v50, v50, v53
	;; [unrolled: 1-line block ×4, first 2 shown]
	v_sub_f16_e32 v57, v94, v82
	v_fma_f16 v59, -0.5, v59, v39
	v_fmac_f16_e32 v39, -0.5, v62
	v_sub_f16_e32 v62, v71, v77
	v_add_f16_e32 v79, v79, v83
	v_sub_f16_e32 v83, v42, v32
	v_add_f16_e32 v87, v87, v93
	;; [unrolled: 2-line block ×5, first 2 shown]
	v_add_f16_e32 v46, v46, v84
	v_fma_f16 v95, -0.5, v95, v78
	v_fmac_f16_e32 v78, -0.5, v40
	v_sub_f16_e32 v40, v4, v35
	v_add_f16_e32 v4, v60, v4
	v_sub_f16_e32 v60, v36, v6
	v_sub_f16_e32 v43, v43, v8
	v_add_f16_e32 v36, v64, v36
	v_add_f16_e32 v53, v53, v94
	v_add_f16_e32 v57, v57, v62
	v_sub_f16_e32 v62, v86, v90
	v_add_f16_e32 v65, v65, v86
	v_sub_f16_e32 v74, v74, v75
	v_sub_f16_e32 v86, v94, v71
	;; [unrolled: 1-line block ×4, first 2 shown]
	v_add_f16_e32 v32, v37, v32
	v_add_f16_e32 v37, v51, v88
	;; [unrolled: 1-line block ×4, first 2 shown]
	v_fmamk_f16 v46, v72, 0x3b9c, v31
	v_fmac_f16_e32 v31, 0xbb9c, v72
	v_fmamk_f16 v51, v93, 0xbb9c, v26
	v_fmac_f16_e32 v26, 0x3b9c, v93
	v_add_f16_e32 v6, v36, v6
	v_add_f16_e32 v36, v53, v71
	v_fmamk_f16 v71, v43, 0xbb9c, v63
	v_sub_f16_e32 v76, v84, v69
	v_fmamk_f16 v84, v40, 0x3b9c, v70
	v_sub_f16_e32 v44, v44, v34
	v_fmamk_f16 v69, v62, 0xbb9c, v45
	v_fmac_f16_e32 v45, 0x3b9c, v62
	v_add_f16_e32 v4, v4, v35
	v_add_f16_e32 v35, v65, v90
	v_fmamk_f16 v65, v74, 0x3b9c, v56
	v_fmac_f16_e32 v56, 0xbb9c, v74
	v_sub_f16_e32 v1, v1, v7
	v_fmac_f16_e32 v63, 0x3b9c, v43
	v_fmac_f16_e32 v70, 0xbb9c, v40
	v_add_f16_e32 v32, v32, v34
	v_fmamk_f16 v34, v82, 0x3b9c, v59
	v_fmac_f16_e32 v59, 0xbb9c, v82
	v_fmac_f16_e32 v46, 0x38b4, v93
	;; [unrolled: 1-line block ×3, first 2 shown]
	v_fmamk_f16 v93, v86, 0xbb9c, v39
	v_fmac_f16_e32 v39, 0x3b9c, v86
	v_fmac_f16_e32 v51, 0x38b4, v72
	;; [unrolled: 1-line block ×3, first 2 shown]
	v_fmamk_f16 v72, v2, 0xbb9c, v95
	v_add_f16_e32 v37, v37, v92
	v_fmamk_f16 v92, v60, 0x3b9c, v78
	v_fmamk_f16 v94, v42, 0x3b9c, v68
	v_fmac_f16_e32 v68, 0xbb9c, v42
	v_fmac_f16_e32 v95, 0x3b9c, v2
	;; [unrolled: 1-line block ×5, first 2 shown]
	v_fmamk_f16 v53, v44, 0xbb9c, v49
	v_fmac_f16_e32 v49, 0x3b9c, v44
	v_fmac_f16_e32 v45, 0xb8b4, v74
	;; [unrolled: 1-line block ×3, first 2 shown]
	v_sub_f16_e32 v80, v80, v73
	v_fmamk_f16 v90, v1, 0xbb9c, v33
	v_fmac_f16_e32 v33, 0x3b9c, v1
	v_add_f16_e32 v4, v4, v8
	v_fmac_f16_e32 v65, 0x38b4, v62
	v_fmac_f16_e32 v63, 0x38b4, v40
	;; [unrolled: 1-line block ×7, first 2 shown]
	v_add_f16_e32 v3, v3, v7
	v_add_f16_e32 v5, v5, v73
	v_fmac_f16_e32 v94, 0xb8b4, v1
	v_fmac_f16_e32 v68, 0x38b4, v1
	v_add_f16_e32 v1, v6, v28
	v_fmac_f16_e32 v34, 0x38b4, v86
	v_add_f16_e32 v6, v36, v77
	v_fmac_f16_e32 v95, 0x38b4, v60
	v_fmac_f16_e32 v78, 0x38b4, v2
	;; [unrolled: 1-line block ×7, first 2 shown]
	v_add_f16_e32 v8, v35, v75
	v_fmac_f16_e32 v45, 0x34f2, v58
	v_fmac_f16_e32 v56, 0x34f2, v54
	v_fmamk_f16 v64, v83, 0x3b9c, v67
	v_fmac_f16_e32 v67, 0xbb9c, v83
	v_fmamk_f16 v88, v80, 0x3b9c, v85
	;; [unrolled: 2-line block ×3, first 2 shown]
	v_fmac_f16_e32 v27, 0x3b9c, v76
	v_fmac_f16_e32 v90, 0xb8b4, v42
	;; [unrolled: 1-line block ×7, first 2 shown]
	v_add_f16_e32 v2, v32, v4
	v_fmac_f16_e32 v59, 0x34f2, v55
	v_fmac_f16_e32 v39, 0x34f2, v79
	;; [unrolled: 1-line block ×7, first 2 shown]
	v_add_f16_e32 v7, v3, v1
	v_add_f16_e32 v42, v5, v6
	v_sub_f16_e32 v1, v3, v1
	v_sub_f16_e32 v3, v5, v6
	v_mul_f16_e32 v5, 0x38b4, v71
	v_fmac_f16_e32 v69, 0x34f2, v58
	v_mul_f16_e32 v6, 0x3b9c, v84
	v_fmac_f16_e32 v53, 0x34f2, v41
	v_fmac_f16_e32 v49, 0x34f2, v41
	v_add_f16_e32 v40, v37, v8
	v_sub_f16_e32 v41, v37, v8
	v_mul_f16_e32 v8, 0x34f2, v45
	v_mul_f16_e32 v28, 0x3a79, v56
	v_fmac_f16_e32 v67, 0x38b4, v44
	v_fmac_f16_e32 v88, 0x38b4, v76
	;; [unrolled: 1-line block ×7, first 2 shown]
	v_sub_f16_e32 v4, v32, v4
	v_fmac_f16_e32 v90, 0x34f2, v30
	v_fmac_f16_e32 v33, 0x34f2, v30
	;; [unrolled: 1-line block ×3, first 2 shown]
	ds_write_b16 v48, v2
	v_mul_f16_e32 v2, 0xb8b4, v65
	v_mul_f16_e32 v29, 0x34f2, v70
	;; [unrolled: 1-line block ×7, first 2 shown]
	v_fmac_f16_e32 v64, 0xb8b4, v44
	v_fmac_f16_e32 v51, 0x34f2, v38
	;; [unrolled: 1-line block ×5, first 2 shown]
	v_mul_f16_e32 v38, 0xb8b4, v34
	v_mul_f16_e32 v44, 0x34f2, v78
	;; [unrolled: 1-line block ×3, first 2 shown]
	v_fmac_f16_e32 v5, 0x3a79, v65
	v_fmac_f16_e32 v6, 0x34f2, v69
	v_fma_f16 v8, v70, 0x3b9c, -v8
	v_fma_f16 v28, v63, 0x38b4, -v28
	v_fmac_f16_e32 v67, 0x34f2, v52
	v_fmac_f16_e32 v88, 0x34f2, v81
	;; [unrolled: 1-line block ×6, first 2 shown]
	v_fma_f16 v29, v45, 0xbb9c, -v29
	v_fma_f16 v30, v56, 0xb8b4, -v30
	v_fmac_f16_e32 v32, 0x3a79, v34
	v_fmac_f16_e32 v35, 0x34f2, v93
	v_fma_f16 v34, v78, 0x3b9c, -v36
	v_fma_f16 v36, v95, 0x38b4, -v37
	v_fmac_f16_e32 v38, 0x3a79, v72
	v_fma_f16 v37, v39, 0xbb9c, -v44
	v_fma_f16 v39, v59, 0xb8b4, -v50
	v_add_f16_e32 v44, v46, v5
	v_add_f16_e32 v45, v51, v6
	;; [unrolled: 1-line block ×3, first 2 shown]
	v_fmac_f16_e32 v64, 0x34f2, v52
	v_add_f16_e32 v52, v31, v28
	v_add_f16_e32 v54, v53, v2
	v_sub_f16_e32 v5, v46, v5
	v_add_f16_e32 v46, v67, v29
	v_sub_f16_e32 v6, v51, v6
	;; [unrolled: 2-line block ×3, first 2 shown]
	v_sub_f16_e32 v26, v31, v28
	v_sub_f16_e32 v2, v53, v2
	;; [unrolled: 1-line block ×4, first 2 shown]
	v_add_f16_e32 v28, v88, v32
	v_add_f16_e32 v29, v89, v35
	;; [unrolled: 1-line block ×4, first 2 shown]
	v_sub_f16_e32 v32, v88, v32
	v_sub_f16_e32 v35, v89, v35
	;; [unrolled: 1-line block ×4, first 2 shown]
	ds_write_b16 v48, v4 offset:640
	v_add_f16_e32 v56, v90, v38
	v_add_f16_e32 v58, v68, v37
	;; [unrolled: 1-line block ×3, first 2 shown]
	v_sub_f16_e32 v60, v90, v38
	v_sub_f16_e32 v61, v68, v37
	;; [unrolled: 1-line block ×3, first 2 shown]
	ds_write_b16 v48, v44 offset:128
	ds_write_b16 v48, v45 offset:256
	;; [unrolled: 1-line block ×8, first 2 shown]
	ds_write_b16 v47, v7
	ds_write_b16 v47, v28 offset:128
	ds_write_b16 v47, v29 offset:256
	;; [unrolled: 1-line block ×9, first 2 shown]
	s_waitcnt lgkmcnt(0)
	s_barrier
	buffer_gl0_inv
	ds_read_u16 v29, v21
	ds_read_u16 v34, v21 offset:1280
	ds_read_u16 v26, v21 offset:1536
	;; [unrolled: 1-line block ×6, first 2 shown]
	ds_read_u16 v7, v22
	ds_read_u16 v8, v23
	;; [unrolled: 1-line block ×4, first 2 shown]
	ds_read_u16 v22, v21 offset:2816
	ds_read_u16 v37, v21 offset:2560
	;; [unrolled: 1-line block ×9, first 2 shown]
	v_mul_f16_e32 v4, 0xbb9c, v69
	v_mul_f16_e32 v43, 0xbb9c, v93
	s_waitcnt lgkmcnt(0)
	s_barrier
	buffer_gl0_inv
	v_fmac_f16_e32 v4, 0x34f2, v84
	v_fmac_f16_e32 v43, 0x34f2, v92
	v_add_f16_e32 v55, v64, v4
	v_sub_f16_e32 v4, v64, v4
	v_add_f16_e32 v57, v94, v43
	v_sub_f16_e32 v43, v94, v43
	ds_write_b16 v48, v40
	ds_write_b16 v48, v54 offset:128
	ds_write_b16 v48, v55 offset:256
	;; [unrolled: 1-line block ×9, first 2 shown]
	ds_write_b16 v47, v42
	ds_write_b16 v47, v56 offset:128
	ds_write_b16 v47, v57 offset:256
	;; [unrolled: 1-line block ×9, first 2 shown]
	s_waitcnt lgkmcnt(0)
	s_barrier
	buffer_gl0_inv
	s_and_saveexec_b32 s4, vcc_lo
	s_cbranch_execz .LBB0_15
; %bb.14:
	v_mul_u32_u24_e32 v3, 3, v0
	v_mul_i32_i24_e32 v1, 3, v16
	v_mov_b32_e32 v2, 0
	v_add_nc_u32_e32 v51, 0x80, v0
	v_mul_i32_i24_e32 v16, -6, v16
	v_lshlrev_b32_e32 v5, 2, v3
	v_add_nc_u32_e32 v52, 0x100, v0
	v_lshlrev_b64 v[3:4], 2, v[1:2]
	v_mul_i32_i24_e32 v1, 3, v15
	v_mul_i32_i24_e32 v15, -6, v15
	v_add_co_u32 v5, s4, s12, v5
	v_add_co_ci_u32_e64 v6, null, s13, 0, s4
	v_mul_lo_u32 v49, s1, v11
	v_add_co_u32 v5, vcc_lo, 0x800, v5
	v_add_co_ci_u32_e32 v6, vcc_lo, 0, v6, vcc_lo
	v_add_co_u32 v3, vcc_lo, s12, v3
	v_add_co_ci_u32_e32 v4, vcc_lo, s13, v4, vcc_lo
	global_load_dwordx3 v[40:42], v[5:6], off offset:496
	v_add_co_u32 v3, vcc_lo, 0x800, v3
	v_add_co_ci_u32_e32 v4, vcc_lo, 0, v4, vcc_lo
	v_mul_lo_u32 v50, s0, v12
	v_mad_u64_u32 v[11:12], null, s0, v11, 0
	global_load_dwordx3 v[43:45], v[3:4], off offset:496
	v_lshlrev_b64 v[5:6], 2, v[1:2]
	v_add_nc_u32_e32 v16, v20, v16
	v_add_nc_u32_e32 v15, v19, v15
	v_lshlrev_b64 v[9:10], 2, v[9:10]
	v_add_nc_u32_e32 v82, 0x180, v0
	v_add3_u32 v12, v12, v50, v49
	v_add_co_u32 v1, vcc_lo, s12, v5
	v_add_co_ci_u32_e32 v4, vcc_lo, s13, v6, vcc_lo
	v_lshlrev_b64 v[11:12], 2, v[11:12]
	v_add_co_u32 v3, vcc_lo, 0x800, v1
	v_add_co_ci_u32_e32 v4, vcc_lo, 0, v4, vcc_lo
	v_mul_i32_i24_e32 v1, 3, v14
	v_mul_i32_i24_e32 v14, -6, v14
	v_mul_hi_u32 v83, 0xcccccccd, v82
	global_load_dwordx3 v[46:48], v[3:4], off offset:496
	v_lshlrev_b64 v[3:4], 2, v[1:2]
	v_add_nc_u32_e32 v14, v18, v14
	v_mul_hi_u32 v18, 0xcccccccd, v52
	v_add_co_u32 v1, vcc_lo, s12, v3
	v_add_co_ci_u32_e32 v4, vcc_lo, s13, v4, vcc_lo
	v_add_co_u32 v3, vcc_lo, 0x800, v1
	v_mul_i32_i24_e32 v1, 3, v13
	v_add_co_ci_u32_e32 v4, vcc_lo, 0, v4, vcc_lo
	v_mul_i32_i24_e32 v13, -6, v13
	v_lshlrev_b64 v[1:2], 2, v[1:2]
	global_load_dwordx3 v[4:6], v[3:4], off offset:496
	v_add_nc_u32_e32 v13, v17, v13
	v_mul_hi_u32 v17, 0xcccccccd, v51
	v_add_co_u32 v1, vcc_lo, s12, v1
	v_add_co_ci_u32_e32 v2, vcc_lo, s13, v2, vcc_lo
	v_add_co_u32 v1, vcc_lo, 0x800, v1
	v_add_co_ci_u32_e32 v2, vcc_lo, 0, v2, vcc_lo
	global_load_dwordx3 v[1:3], v[1:2], off offset:496
	ds_read_u16 v66, v21 offset:4864
	ds_read_u16 v67, v21 offset:4608
	;; [unrolled: 1-line block ×15, first 2 shown]
	ds_read_u16 v81, v21
	v_mul_hi_u32 v21, 0xcccccccd, v0
	ds_read_u16 v84, v16
	ds_read_u16 v85, v15
	;; [unrolled: 1-line block ×3, first 2 shown]
	v_lshrrev_b32_e32 v15, 9, v17
	v_lshrrev_b32_e32 v17, 9, v18
	ds_read_u16 v87, v13
	v_add_co_u32 v16, vcc_lo, s10, v11
	v_mul_u32_u24_e32 v13, 0x280, v15
	v_lshrrev_b32_e32 v19, 9, v21
	v_add_co_ci_u32_e32 v18, vcc_lo, s11, v12, vcc_lo
	v_add_co_u32 v88, vcc_lo, v16, v9
	v_mul_u32_u24_e32 v14, 0x280, v19
	v_sub_nc_u32_e32 v19, v51, v13
	v_add_co_ci_u32_e32 v89, vcc_lo, v18, v10, vcc_lo
	v_sub_nc_u32_e32 v21, v0, v14
	v_mul_u32_u24_e32 v14, 0x280, v17
	v_mad_u32_u24 v64, 0xa00, v15, v19
	v_add_nc_u32_e32 v62, 0x500, v21
	v_add_nc_u32_e32 v63, 0x780, v21
	;; [unrolled: 1-line block ×3, first 2 shown]
	v_sub_nc_u32_e32 v20, v52, v14
	v_mad_u64_u32 v[11:12], null, s2, v21, 0
	v_mad_u64_u32 v[13:14], null, s2, v62, 0
	;; [unrolled: 1-line block ×4, first 2 shown]
	v_mad_u32_u24 v90, 0xa00, v17, v20
	v_mad_u64_u32 v[17:18], null, s2, v64, 0
	v_add_nc_u32_e32 v65, 0x280, v64
	v_add_nc_u32_e32 v91, 0x500, v64
	;; [unrolled: 1-line block ×3, first 2 shown]
	v_mad_u64_u32 v[49:50], null, s3, v21, v[12:13]
	v_mad_u64_u32 v[19:20], null, s2, v90, 0
	v_mov_b32_e32 v12, v14
	v_mad_u64_u32 v[50:51], null, s2, v65, 0
	v_mov_b32_e32 v14, v16
	v_mad_u64_u32 v[52:53], null, s2, v91, 0
	v_mad_u64_u32 v[54:55], null, s2, v92, 0
	;; [unrolled: 1-line block ×3, first 2 shown]
	v_mov_b32_e32 v10, v18
	v_mad_u64_u32 v[61:62], null, s3, v62, v[12:13]
	v_mad_u64_u32 v[62:63], null, s3, v63, v[14:15]
	v_mov_b32_e32 v14, v20
	v_mad_u64_u32 v[20:21], null, s3, v64, v[10:11]
	v_mov_b32_e32 v18, v51
	v_mov_b32_e32 v12, v49
	;; [unrolled: 1-line block ×4, first 2 shown]
	v_mad_u64_u32 v[63:64], null, s3, v90, v[14:15]
	v_mov_b32_e32 v10, v60
	v_mov_b32_e32 v14, v61
	v_mad_u64_u32 v[60:61], null, s3, v65, v[18:19]
	v_mov_b32_e32 v16, v62
	v_mad_u64_u32 v[61:62], null, s3, v91, v[21:22]
	v_mad_u64_u32 v[64:65], null, s3, v92, v[49:50]
	v_mov_b32_e32 v18, v20
	v_mov_b32_e32 v51, v60
	;; [unrolled: 1-line block ×3, first 2 shown]
	v_lshlrev_b64 v[11:12], 2, v[11:12]
	v_mov_b32_e32 v53, v61
	v_lshlrev_b64 v[9:10], 2, v[9:10]
	v_mov_b32_e32 v55, v64
	v_lshlrev_b64 v[49:50], 2, v[50:51]
	v_lshlrev_b64 v[13:14], 2, v[13:14]
	;; [unrolled: 1-line block ×3, first 2 shown]
	v_add_co_u32 v11, vcc_lo, v88, v11
	v_lshlrev_b64 v[53:54], 2, v[54:55]
	v_add_co_ci_u32_e32 v12, vcc_lo, v89, v12, vcc_lo
	v_lshlrev_b64 v[15:16], 2, v[15:16]
	v_add_co_u32 v9, vcc_lo, v88, v9
	v_add_co_ci_u32_e32 v10, vcc_lo, v89, v10, vcc_lo
	v_lshlrev_b64 v[17:18], 2, v[17:18]
	v_add_co_u32 v13, vcc_lo, v88, v13
	v_add_co_ci_u32_e32 v14, vcc_lo, v89, v14, vcc_lo
	v_add_co_u32 v15, vcc_lo, v88, v15
	v_add_nc_u32_e32 v93, 0x280, v90
	v_add_nc_u32_e32 v94, 0x500, v90
	v_add_co_ci_u32_e32 v16, vcc_lo, v89, v16, vcc_lo
	v_add_co_u32 v17, vcc_lo, v88, v17
	v_add_co_ci_u32_e32 v18, vcc_lo, v89, v18, vcc_lo
	v_mad_u64_u32 v[56:57], null, s2, v93, 0
	v_mad_u64_u32 v[58:59], null, s2, v94, 0
	v_add_co_u32 v49, vcc_lo, v88, v49
	v_add_co_ci_u32_e32 v50, vcc_lo, v89, v50, vcc_lo
	v_add_co_u32 v51, vcc_lo, v88, v51
	v_add_co_ci_u32_e32 v52, vcc_lo, v89, v52, vcc_lo
	v_lshlrev_b64 v[19:20], 2, v[19:20]
	v_add_co_u32 v53, vcc_lo, v88, v53
	v_add_co_ci_u32_e32 v54, vcc_lo, v89, v54, vcc_lo
	s_waitcnt vmcnt(4)
	v_lshrrev_b32_e32 v21, 16, v40
	v_lshrrev_b32_e32 v55, 16, v41
	;; [unrolled: 1-line block ×3, first 2 shown]
	s_waitcnt lgkmcnt(5)
	v_mul_f16_e32 v61, v40, v80
	v_mul_f16_e32 v62, v42, v70
	;; [unrolled: 1-line block ×4, first 2 shown]
	s_waitcnt vmcnt(3)
	v_lshrrev_b32_e32 v65, 16, v44
	v_lshrrev_b32_e32 v91, 16, v45
	v_mul_f16_e32 v95, v44, v71
	v_lshrrev_b32_e32 v64, 16, v43
	v_mul_f16_e32 v92, v43, v76
	v_mul_f16_e32 v96, v45, v66
	v_fmac_f16_e32 v63, v37, v55
	v_fmac_f16_e32 v61, v34, v21
	v_mul_f16_e32 v21, v21, v80
	v_fmac_f16_e32 v62, v39, v60
	v_mul_f16_e32 v55, v60, v70
	v_mul_f16_e32 v60, v65, v71
	v_fmac_f16_e32 v95, v38, v65
	v_mul_f16_e32 v65, v91, v66
	v_fmac_f16_e32 v92, v35, v64
	;; [unrolled: 2-line block ×3, first 2 shown]
	v_fma_f16 v21, v34, v40, -v21
	v_fma_f16 v34, v39, v42, -v55
	s_waitcnt vmcnt(2)
	v_lshrrev_b32_e32 v66, 16, v46
	v_lshrrev_b32_e32 v71, 16, v48
	v_mul_f16_e32 v76, v46, v77
	v_mul_f16_e32 v80, v48, v67
	v_sub_f16_e32 v39, v61, v62
	s_waitcnt lgkmcnt(4)
	v_sub_f16_e32 v40, v81, v63
	v_fma_f16 v38, v38, v44, -v60
	v_fma_f16 v36, v36, v45, -v65
	v_mul_f16_e32 v44, v66, v77
	v_mul_f16_e32 v45, v71, v67
	v_fma_f16 v37, v37, v41, -v75
	v_fma_f16 v35, v35, v43, -v64
	v_fmac_f16_e32 v76, v31, v66
	v_fmac_f16_e32 v80, v33, v71
	v_fma_f16 v31, v31, v46, -v44
	v_fma_f16 v33, v33, v48, -v45
	v_lshrrev_b32_e32 v70, 16, v47
	v_sub_f16_e32 v37, v29, v37
	v_sub_f16_e32 v34, v21, v34
	v_mul_f16_e32 v91, v47, v72
	v_fma_f16 v66, v81, 2.0, -v40
	s_waitcnt vmcnt(1)
	v_lshrrev_b32_e32 v55, 16, v4
	v_lshrrev_b32_e32 v60, 16, v5
	;; [unrolled: 1-line block ×3, first 2 shown]
	v_mul_f16_e32 v63, v4, v78
	v_mul_f16_e32 v65, v5, v73
	;; [unrolled: 1-line block ×5, first 2 shown]
	v_fmac_f16_e32 v63, v27, v55
	v_fmac_f16_e32 v65, v28, v60
	v_mul_f16_e32 v46, v62, v68
	v_fmac_f16_e32 v64, v25, v62
	v_fma_f16 v5, v28, v5, -v44
	v_fma_f16 v4, v27, v4, -v45
	v_mul_f16_e32 v43, v70, v72
	v_fma_f16 v6, v25, v6, -v46
	v_fma_f16 v61, v61, 2.0, -v39
	s_waitcnt vmcnt(0)
	v_lshrrev_b32_e32 v48, 16, v1
	v_lshrrev_b32_e32 v55, 16, v2
	;; [unrolled: 1-line block ×3, first 2 shown]
	v_mul_f16_e32 v62, v1, v79
	v_mul_f16_e32 v68, v3, v69
	;; [unrolled: 1-line block ×6, first 2 shown]
	v_sub_f16_e32 v39, v37, v39
	v_add_f16_e32 v72, v40, v34
	v_fma_f16 v29, v29, 2.0, -v37
	v_fma_f16 v21, v21, 2.0, -v34
	v_sub_f16_e32 v28, v63, v64
	v_fmac_f16_e32 v62, v26, v48
	v_fmac_f16_e32 v68, v23, v60
	;; [unrolled: 1-line block ×3, first 2 shown]
	v_sub_f16_e32 v5, v8, v5
	v_fma_f16 v2, v22, v2, -v25
	v_fma_f16 v1, v26, v1, -v27
	;; [unrolled: 1-line block ×3, first 2 shown]
	v_sub_f16_e32 v34, v66, v61
	s_waitcnt lgkmcnt(1)
	v_sub_f16_e32 v44, v86, v65
	v_fma_f16 v37, v37, 2.0, -v39
	v_fma_f16 v40, v40, 2.0, -v72
	v_sub_f16_e32 v21, v29, v21
	v_sub_f16_e32 v6, v4, v6
	v_fma_f16 v63, v63, 2.0, -v28
	v_sub_f16_e32 v22, v62, v68
	s_waitcnt lgkmcnt(0)
	v_sub_f16_e32 v25, v87, v71
	v_sub_f16_e32 v28, v5, v28
	;; [unrolled: 1-line block ×4, first 2 shown]
	v_fma_f16 v46, v66, 2.0, -v34
	v_fma_f16 v23, v29, 2.0, -v21
	v_pack_b32_f16 v26, v37, v40
	v_pack_b32_f16 v21, v21, v34
	v_add_f16_e32 v34, v44, v6
	v_fma_f16 v8, v8, 2.0, -v5
	v_fma_f16 v4, v4, 2.0, -v6
	;; [unrolled: 1-line block ×7, first 2 shown]
	v_pack_b32_f16 v23, v23, v46
	v_sub_f16_e32 v46, v8, v4
	v_sub_f16_e32 v4, v2, v22
	v_sub_f16_e32 v22, v6, v40
	v_sub_f16_e32 v1, v5, v1
	v_add_f16_e32 v3, v25, v3
	global_store_dword v[11:12], v23, off
	v_fma_f16 v2, v2, 2.0, -v4
	v_fma_f16 v6, v6, 2.0, -v22
	;; [unrolled: 1-line block ×4, first 2 shown]
	v_pack_b32_f16 v39, v39, v72
	v_fma_f16 v60, v86, 2.0, -v44
	global_store_dword v[9:10], v26, off
	global_store_dword v[13:14], v21, off
	global_store_dword v[15:16], v39, off
	v_pack_b32_f16 v5, v5, v6
	v_add_nc_u32_e32 v10, 0x780, v90
	v_pack_b32_f16 v2, v2, v11
	v_pack_b32_f16 v1, v1, v22
	v_sub_f16_e32 v37, v60, v63
	v_lshrrev_b32_e32 v11, 9, v83
	v_pack_b32_f16 v9, v4, v3
	global_store_dword v[17:18], v5, off
	global_store_dword v[49:50], v2, off
	;; [unrolled: 1-line block ×3, first 2 shown]
	v_mad_u64_u32 v[3:4], null, s3, v93, v[57:58]
	v_mad_u64_u32 v[5:6], null, s2, v10, 0
	v_fma_f16 v7, v60, 2.0, -v37
	v_fma_f16 v8, v8, 2.0, -v46
	v_mov_b32_e32 v4, v59
	v_mul_u32_u24_e32 v12, 0x280, v11
	v_add_co_u32 v1, vcc_lo, v88, v19
	v_pack_b32_f16 v13, v8, v7
	v_mad_u64_u32 v[7:8], null, s3, v94, v[4:5]
	v_mov_b32_e32 v57, v3
	v_sub_nc_u32_e32 v4, v82, v12
	v_add_co_ci_u32_e32 v2, vcc_lo, v89, v20, vcc_lo
	global_store_dword v[53:54], v9, off
	global_store_dword v[1:2], v13, off
	v_lshlrev_b64 v[2:3], 2, v[56:57]
	v_mad_u32_u24 v13, 0xa00, v11, v4
	v_mov_b32_e32 v1, v6
	v_mov_b32_e32 v59, v7
	v_fma_f16 v44, v44, 2.0, -v34
	v_pack_b32_f16 v16, v46, v37
	v_add_nc_u32_e32 v15, 0x280, v13
	v_mad_u64_u32 v[6:7], null, s3, v10, v[1:2]
	v_add_co_u32 v1, vcc_lo, v88, v2
	v_add_co_ci_u32_e32 v2, vcc_lo, v89, v3, vcc_lo
	v_lshlrev_b64 v[3:4], 2, v[58:59]
	v_mad_u64_u32 v[7:8], null, s2, v13, 0
	v_mad_u64_u32 v[9:10], null, s2, v15, 0
	v_lshlrev_b64 v[5:6], 2, v[5:6]
	v_add_co_u32 v3, vcc_lo, v88, v3
	v_pack_b32_f16 v14, v45, v44
	v_add_co_ci_u32_e32 v4, vcc_lo, v89, v4, vcc_lo
	v_mad_u64_u32 v[11:12], null, s3, v13, v[8:9]
	global_store_dword v[1:2], v14, off
	global_store_dword v[3:4], v16, off
	v_mov_b32_e32 v1, v10
	v_add_co_u32 v2, vcc_lo, v88, v5
	v_sub_f16_e32 v41, v92, v96
	v_sub_f16_e32 v42, v84, v95
	v_mov_b32_e32 v8, v11
	v_mad_u64_u32 v[4:5], null, s3, v15, v[1:2]
	v_add_nc_u32_e32 v11, 0x500, v13
	v_fmac_f16_e32 v91, v32, v70
	v_fma_f16 v32, v32, v47, -v43
	v_add_nc_u32_e32 v12, 0x200, v0
	v_add_co_ci_u32_e32 v3, vcc_lo, v89, v6, vcc_lo
	v_pack_b32_f16 v10, v28, v34
	v_mad_u64_u32 v[5:6], null, s2, v11, 0
	v_sub_f16_e32 v36, v35, v36
	v_fma_f16 v67, v84, 2.0, -v42
	v_fma_f16 v70, v92, 2.0, -v41
	v_sub_f16_e32 v43, v76, v80
	v_sub_f16_e32 v47, v85, v91
	;; [unrolled: 1-line block ×4, first 2 shown]
	v_lshlrev_b64 v[0:1], 2, v[7:8]
	v_mul_hi_u32 v7, 0xcccccccd, v12
	global_store_dword v[2:3], v10, off
	v_mov_b32_e32 v10, v4
	v_sub_f16_e32 v38, v30, v38
	v_add_f16_e32 v61, v42, v36
	v_fma_f16 v35, v35, 2.0, -v36
	v_sub_f16_e32 v36, v67, v70
	v_fma_f16 v70, v85, 2.0, -v47
	v_fma_f16 v73, v76, 2.0, -v43
	v_fma_f16 v24, v24, 2.0, -v32
	v_fma_f16 v31, v31, 2.0, -v33
	v_lshlrev_b64 v[3:4], 2, v[9:10]
	v_mov_b32_e32 v2, v6
	v_lshrrev_b32_e32 v8, 9, v7
	v_fma_f16 v30, v30, 2.0, -v38
	v_sub_f16_e32 v43, v32, v43
	v_add_f16_e32 v55, v47, v33
	v_sub_f16_e32 v33, v70, v73
	v_sub_f16_e32 v31, v24, v31
	v_mad_u64_u32 v[6:7], null, s3, v11, v[2:3]
	v_mul_u32_u24_e32 v7, 0x280, v8
	v_sub_f16_e32 v35, v30, v35
	v_fma_f16 v29, v32, 2.0, -v43
	v_fma_f16 v32, v70, 2.0, -v33
	;; [unrolled: 1-line block ×3, first 2 shown]
	v_add_co_u32 v0, vcc_lo, v88, v0
	v_sub_nc_u32_e32 v7, v12, v7
	v_fma_f16 v27, v30, 2.0, -v35
	v_fma_f16 v30, v47, 2.0, -v55
	v_add_co_ci_u32_e32 v1, vcc_lo, v89, v1, vcc_lo
	v_pack_b32_f16 v9, v24, v32
	v_add_co_u32 v2, vcc_lo, v88, v3
	v_mad_u32_u24 v12, 0xa00, v8, v7
	v_add_co_ci_u32_e32 v3, vcc_lo, v89, v4, vcc_lo
	v_pack_b32_f16 v4, v29, v30
	global_store_dword v[0:1], v9, off
	v_add_nc_u32_e32 v9, 0x780, v13
	v_add_nc_u32_e32 v13, 0x280, v12
	v_lshlrev_b64 v[0:1], 2, v[5:6]
	global_store_dword v[2:3], v4, off
	v_mad_u64_u32 v[4:5], null, s2, v12, 0
	v_mad_u64_u32 v[2:3], null, s2, v9, 0
	;; [unrolled: 1-line block ×3, first 2 shown]
	v_add_nc_u32_e32 v15, 0x500, v12
	v_add_co_u32 v0, vcc_lo, v88, v0
	v_add_co_ci_u32_e32 v1, vcc_lo, v89, v1, vcc_lo
	v_mad_u64_u32 v[8:9], null, s3, v9, v[3:4]
	v_mad_u64_u32 v[9:10], null, s3, v12, v[5:6]
	v_mov_b32_e32 v5, v7
	v_mad_u64_u32 v[10:11], null, s2, v15, 0
	v_add_nc_u32_e32 v12, 0x780, v12
	v_pack_b32_f16 v14, v31, v33
	v_mov_b32_e32 v3, v8
	v_mad_u64_u32 v[7:8], null, s3, v13, v[5:6]
	v_mov_b32_e32 v5, v9
	v_mad_u64_u32 v[8:9], null, s2, v12, 0
	global_store_dword v[0:1], v14, off
	v_lshlrev_b64 v[0:1], 2, v[2:3]
	v_mov_b32_e32 v2, v11
	v_lshlrev_b64 v[4:5], 2, v[4:5]
	v_lshlrev_b64 v[6:7], 2, v[6:7]
	v_sub_f16_e32 v41, v38, v41
	v_fma_f16 v48, v67, 2.0, -v36
	v_mad_u64_u32 v[2:3], null, s3, v15, v[2:3]
	v_mov_b32_e32 v3, v9
	v_add_co_u32 v0, vcc_lo, v88, v0
	v_add_co_ci_u32_e32 v1, vcc_lo, v89, v1, vcc_lo
	v_mad_u64_u32 v[12:13], null, s3, v12, v[3:4]
	v_mov_b32_e32 v11, v2
	v_add_co_u32 v2, vcc_lo, v88, v4
	v_add_co_ci_u32_e32 v3, vcc_lo, v89, v5, vcc_lo
	v_lshlrev_b64 v[4:5], 2, v[10:11]
	v_mov_b32_e32 v9, v12
	v_add_co_u32 v6, vcc_lo, v88, v6
	v_fma_f16 v38, v38, 2.0, -v41
	v_fma_f16 v42, v42, 2.0, -v61
	v_lshlrev_b64 v[8:9], 2, v[8:9]
	v_add_co_ci_u32_e32 v7, vcc_lo, v89, v7, vcc_lo
	v_add_co_u32 v4, vcc_lo, v88, v4
	v_pack_b32_f16 v14, v43, v55
	v_pack_b32_f16 v13, v27, v48
	v_add_co_ci_u32_e32 v5, vcc_lo, v89, v5, vcc_lo
	v_pack_b32_f16 v10, v38, v42
	v_add_co_u32 v8, vcc_lo, v88, v8
	v_pack_b32_f16 v11, v35, v36
	v_add_co_ci_u32_e32 v9, vcc_lo, v89, v9, vcc_lo
	v_pack_b32_f16 v12, v41, v61
	global_store_dword v[0:1], v14, off
	global_store_dword v[2:3], v13, off
	;; [unrolled: 1-line block ×5, first 2 shown]
.LBB0_15:
	s_endpgm
	.section	.rodata,"a",@progbits
	.p2align	6, 0x0
	.amdhsa_kernel fft_rtc_fwd_len2560_factors_4_4_4_10_4_wgs_128_tpt_128_halfLds_half_op_CI_CI_sbrr_dirReg
		.amdhsa_group_segment_fixed_size 0
		.amdhsa_private_segment_fixed_size 0
		.amdhsa_kernarg_size 104
		.amdhsa_user_sgpr_count 6
		.amdhsa_user_sgpr_private_segment_buffer 1
		.amdhsa_user_sgpr_dispatch_ptr 0
		.amdhsa_user_sgpr_queue_ptr 0
		.amdhsa_user_sgpr_kernarg_segment_ptr 1
		.amdhsa_user_sgpr_dispatch_id 0
		.amdhsa_user_sgpr_flat_scratch_init 0
		.amdhsa_user_sgpr_private_segment_size 0
		.amdhsa_wavefront_size32 1
		.amdhsa_uses_dynamic_stack 0
		.amdhsa_system_sgpr_private_segment_wavefront_offset 0
		.amdhsa_system_sgpr_workgroup_id_x 1
		.amdhsa_system_sgpr_workgroup_id_y 0
		.amdhsa_system_sgpr_workgroup_id_z 0
		.amdhsa_system_sgpr_workgroup_info 0
		.amdhsa_system_vgpr_workitem_id 0
		.amdhsa_next_free_vgpr 97
		.amdhsa_next_free_sgpr 31
		.amdhsa_reserve_vcc 1
		.amdhsa_reserve_flat_scratch 0
		.amdhsa_float_round_mode_32 0
		.amdhsa_float_round_mode_16_64 0
		.amdhsa_float_denorm_mode_32 3
		.amdhsa_float_denorm_mode_16_64 3
		.amdhsa_dx10_clamp 1
		.amdhsa_ieee_mode 1
		.amdhsa_fp16_overflow 0
		.amdhsa_workgroup_processor_mode 1
		.amdhsa_memory_ordered 1
		.amdhsa_forward_progress 0
		.amdhsa_shared_vgpr_count 0
		.amdhsa_exception_fp_ieee_invalid_op 0
		.amdhsa_exception_fp_denorm_src 0
		.amdhsa_exception_fp_ieee_div_zero 0
		.amdhsa_exception_fp_ieee_overflow 0
		.amdhsa_exception_fp_ieee_underflow 0
		.amdhsa_exception_fp_ieee_inexact 0
		.amdhsa_exception_int_div_zero 0
	.end_amdhsa_kernel
	.text
.Lfunc_end0:
	.size	fft_rtc_fwd_len2560_factors_4_4_4_10_4_wgs_128_tpt_128_halfLds_half_op_CI_CI_sbrr_dirReg, .Lfunc_end0-fft_rtc_fwd_len2560_factors_4_4_4_10_4_wgs_128_tpt_128_halfLds_half_op_CI_CI_sbrr_dirReg
                                        ; -- End function
	.section	.AMDGPU.csdata,"",@progbits
; Kernel info:
; codeLenInByte = 13212
; NumSgprs: 33
; NumVgprs: 97
; ScratchSize: 0
; MemoryBound: 0
; FloatMode: 240
; IeeeMode: 1
; LDSByteSize: 0 bytes/workgroup (compile time only)
; SGPRBlocks: 4
; VGPRBlocks: 12
; NumSGPRsForWavesPerEU: 33
; NumVGPRsForWavesPerEU: 97
; Occupancy: 9
; WaveLimiterHint : 1
; COMPUTE_PGM_RSRC2:SCRATCH_EN: 0
; COMPUTE_PGM_RSRC2:USER_SGPR: 6
; COMPUTE_PGM_RSRC2:TRAP_HANDLER: 0
; COMPUTE_PGM_RSRC2:TGID_X_EN: 1
; COMPUTE_PGM_RSRC2:TGID_Y_EN: 0
; COMPUTE_PGM_RSRC2:TGID_Z_EN: 0
; COMPUTE_PGM_RSRC2:TIDIG_COMP_CNT: 0
	.text
	.p2alignl 6, 3214868480
	.fill 48, 4, 3214868480
	.type	__hip_cuid_859d9d839a26158a,@object ; @__hip_cuid_859d9d839a26158a
	.section	.bss,"aw",@nobits
	.globl	__hip_cuid_859d9d839a26158a
__hip_cuid_859d9d839a26158a:
	.byte	0                               ; 0x0
	.size	__hip_cuid_859d9d839a26158a, 1

	.ident	"AMD clang version 19.0.0git (https://github.com/RadeonOpenCompute/llvm-project roc-6.4.0 25133 c7fe45cf4b819c5991fe208aaa96edf142730f1d)"
	.section	".note.GNU-stack","",@progbits
	.addrsig
	.addrsig_sym __hip_cuid_859d9d839a26158a
	.amdgpu_metadata
---
amdhsa.kernels:
  - .args:
      - .actual_access:  read_only
        .address_space:  global
        .offset:         0
        .size:           8
        .value_kind:     global_buffer
      - .offset:         8
        .size:           8
        .value_kind:     by_value
      - .actual_access:  read_only
        .address_space:  global
        .offset:         16
        .size:           8
        .value_kind:     global_buffer
      - .actual_access:  read_only
        .address_space:  global
        .offset:         24
        .size:           8
        .value_kind:     global_buffer
      - .actual_access:  read_only
        .address_space:  global
        .offset:         32
        .size:           8
        .value_kind:     global_buffer
      - .offset:         40
        .size:           8
        .value_kind:     by_value
      - .actual_access:  read_only
        .address_space:  global
        .offset:         48
        .size:           8
        .value_kind:     global_buffer
      - .actual_access:  read_only
        .address_space:  global
        .offset:         56
        .size:           8
        .value_kind:     global_buffer
      - .offset:         64
        .size:           4
        .value_kind:     by_value
      - .actual_access:  read_only
        .address_space:  global
        .offset:         72
        .size:           8
        .value_kind:     global_buffer
      - .actual_access:  read_only
        .address_space:  global
        .offset:         80
        .size:           8
        .value_kind:     global_buffer
      - .actual_access:  read_only
        .address_space:  global
        .offset:         88
        .size:           8
        .value_kind:     global_buffer
      - .actual_access:  write_only
        .address_space:  global
        .offset:         96
        .size:           8
        .value_kind:     global_buffer
    .group_segment_fixed_size: 0
    .kernarg_segment_align: 8
    .kernarg_segment_size: 104
    .language:       OpenCL C
    .language_version:
      - 2
      - 0
    .max_flat_workgroup_size: 128
    .name:           fft_rtc_fwd_len2560_factors_4_4_4_10_4_wgs_128_tpt_128_halfLds_half_op_CI_CI_sbrr_dirReg
    .private_segment_fixed_size: 0
    .sgpr_count:     33
    .sgpr_spill_count: 0
    .symbol:         fft_rtc_fwd_len2560_factors_4_4_4_10_4_wgs_128_tpt_128_halfLds_half_op_CI_CI_sbrr_dirReg.kd
    .uniform_work_group_size: 1
    .uses_dynamic_stack: false
    .vgpr_count:     97
    .vgpr_spill_count: 0
    .wavefront_size: 32
    .workgroup_processor_mode: 1
amdhsa.target:   amdgcn-amd-amdhsa--gfx1030
amdhsa.version:
  - 1
  - 2
...

	.end_amdgpu_metadata
